;; amdgpu-corpus repo=ROCm/rocFFT kind=compiled arch=gfx1100 opt=O3
	.text
	.amdgcn_target "amdgcn-amd-amdhsa--gfx1100"
	.amdhsa_code_object_version 6
	.protected	bluestein_single_fwd_len1848_dim1_dp_op_CI_CI ; -- Begin function bluestein_single_fwd_len1848_dim1_dp_op_CI_CI
	.globl	bluestein_single_fwd_len1848_dim1_dp_op_CI_CI
	.p2align	8
	.type	bluestein_single_fwd_len1848_dim1_dp_op_CI_CI,@function
bluestein_single_fwd_len1848_dim1_dp_op_CI_CI: ; @bluestein_single_fwd_len1848_dim1_dp_op_CI_CI
; %bb.0:
	s_load_b128 s[8:11], s[0:1], 0x28
	v_mul_u32_u24_e32 v1, 0x11c, v0
	s_mov_b32 s2, exec_lo
	v_mov_b32_e32 v11, 0
	s_delay_alu instid0(VALU_DEP_2) | instskip(NEXT) | instid1(VALU_DEP_1)
	v_lshrrev_b32_e32 v1, 16, v1
	v_add_nc_u32_e32 v10, s15, v1
	s_waitcnt lgkmcnt(0)
	s_delay_alu instid0(VALU_DEP_1)
	v_cmpx_gt_u64_e64 s[8:9], v[10:11]
	s_cbranch_execz .LBB0_31
; %bb.1:
	s_clause 0x1
	s_load_b128 s[4:7], s[0:1], 0x18
	s_load_b64 s[2:3], s[0:1], 0x0
	v_mul_lo_u16 v1, 0xe7, v1
	v_mov_b32_e32 v6, v10
	s_delay_alu instid0(VALU_DEP_2) | instskip(NEXT) | instid1(VALU_DEP_1)
	v_sub_nc_u16 v50, v0, v1
	v_and_b32_e32 v11, 0xffff, v50
	s_delay_alu instid0(VALU_DEP_1)
	v_lshlrev_b32_e32 v255, 4, v11
	s_waitcnt lgkmcnt(0)
	s_load_b128 s[12:15], s[4:5], 0x0
	s_clause 0x1
	global_load_b128 v[51:54], v255, s[2:3]
	global_load_b128 v[55:58], v255, s[2:3] offset:3696
	v_add_co_u32 v8, s4, s2, v255
	s_delay_alu instid0(VALU_DEP_1)
	v_add_co_ci_u32_e64 v9, null, s3, 0, s4
	scratch_store_b32 off, v11, off         ; 4-byte Folded Spill
	v_add_co_u32 v2, vcc_lo, 0x2000, v8
	s_clause 0x2
	scratch_store_b32 off, v8, off offset:4
	scratch_store_b32 off, v9, off offset:8
	scratch_store_b64 off, v[6:7], off offset:12
	v_add_co_ci_u32_e32 v3, vcc_lo, 0, v9, vcc_lo
	v_add_co_u32 v12, vcc_lo, 0x4000, v8
	v_add_co_ci_u32_e32 v13, vcc_lo, 0, v9, vcc_lo
	v_add_co_u32 v22, vcc_lo, 0x3000, v8
	s_waitcnt lgkmcnt(0)
	v_mad_u64_u32 v[0:1], null, s14, v10, 0
	v_mad_u64_u32 v[4:5], null, s12, v11, 0
	v_add_co_ci_u32_e32 v23, vcc_lo, 0, v9, vcc_lo
	v_add_co_u32 v24, vcc_lo, 0x5000, v8
	s_delay_alu instid0(VALU_DEP_4)
	v_mad_u64_u32 v[6:7], null, s15, v10, v[1:2]
	v_add_co_ci_u32_e32 v25, vcc_lo, 0, v9, vcc_lo
	s_clause 0x1
	global_load_b128 v[63:66], v[2:3], off offset:1664
	global_load_b128 v[59:62], v[12:13], off offset:3328
	s_mul_i32 s3, s13, 0x268
	s_mul_hi_u32 s5, s12, 0x268
	v_mad_u64_u32 v[7:8], null, s13, v11, v[5:6]
	v_mov_b32_e32 v1, v6
	s_mul_i32 s2, s12, 0x268
	s_add_i32 s3, s5, s3
	s_mul_hi_u32 s9, s12, 0xfffffc17
	s_mul_i32 s8, s13, 0xfffffc17
	v_lshlrev_b64 v[0:1], 4, v[0:1]
	s_delay_alu instid0(VALU_DEP_3)
	v_mov_b32_e32 v5, v7
	s_sub_i32 s5, s9, s12
	s_mul_i32 s4, s12, 0xfffffc17
	s_add_i32 s5, s5, s8
	scratch_store_b64 off, v[12:13], off offset:20 ; 8-byte Folded Spill
	v_lshlrev_b64 v[2:3], 4, v[4:5]
	v_add_co_u32 v0, vcc_lo, s10, v0
	v_add_co_ci_u32_e32 v1, vcc_lo, s11, v1, vcc_lo
	s_lshl_b64 s[10:11], s[2:3], 4
	s_delay_alu instid0(VALU_DEP_2) | instskip(NEXT) | instid1(VALU_DEP_2)
	v_add_co_u32 v0, vcc_lo, v0, v2
	v_add_co_ci_u32_e32 v1, vcc_lo, v1, v3, vcc_lo
	s_lshl_b64 s[2:3], s[4:5], 4
	s_delay_alu instid0(VALU_DEP_2) | instskip(NEXT) | instid1(VALU_DEP_2)
	v_add_co_u32 v6, vcc_lo, v0, s10
	v_add_co_ci_u32_e32 v7, vcc_lo, s11, v1, vcc_lo
	s_delay_alu instid0(VALU_DEP_2) | instskip(NEXT) | instid1(VALU_DEP_2)
	v_add_co_u32 v10, vcc_lo, v6, s10
	v_add_co_ci_u32_e32 v11, vcc_lo, s11, v7, vcc_lo
	s_clause 0x1
	global_load_b128 v[2:5], v[0:1], off
	global_load_b128 v[6:9], v[6:7], off
	v_add_co_u32 v14, vcc_lo, v10, s2
	v_add_co_ci_u32_e32 v15, vcc_lo, s3, v11, vcc_lo
	s_delay_alu instid0(VALU_DEP_2) | instskip(NEXT) | instid1(VALU_DEP_2)
	v_add_co_u32 v18, vcc_lo, v14, s10
	v_add_co_ci_u32_e32 v19, vcc_lo, s11, v15, vcc_lo
	s_clause 0x1
	global_load_b128 v[10:13], v[10:11], off
	global_load_b128 v[14:17], v[14:15], off
	v_add_co_u32 v0, vcc_lo, v18, s10
	v_add_co_ci_u32_e32 v1, vcc_lo, s11, v19, vcc_lo
	global_load_b128 v[18:21], v[18:19], off
	s_clause 0x1
	global_load_b128 v[67:70], v[22:23], off offset:1264
	global_load_b128 v[71:74], v[24:25], off offset:2928
	global_load_b128 v[22:25], v[0:1], off
	v_cmp_gt_u16_e32 vcc_lo, 0x9a, v50
	s_waitcnt vmcnt(11)
	scratch_store_b128 off, v[51:54], off offset:28 ; 16-byte Folded Spill
	s_waitcnt vmcnt(10)
	scratch_store_b128 off, v[55:58], off offset:44 ; 16-byte Folded Spill
	;; [unrolled: 2-line block ×4, first 2 shown]
	s_waitcnt vmcnt(7)
	v_mul_f64 v[26:27], v[4:5], v[53:54]
	v_mul_f64 v[28:29], v[2:3], v[53:54]
	s_waitcnt vmcnt(6)
	v_mul_f64 v[30:31], v[8:9], v[65:66]
	v_mul_f64 v[32:33], v[6:7], v[65:66]
	s_waitcnt vmcnt(5)
	v_mul_f64 v[34:35], v[12:13], v[61:62]
	s_waitcnt vmcnt(4)
	v_mul_f64 v[36:37], v[16:17], v[57:58]
	v_mul_f64 v[38:39], v[14:15], v[57:58]
	;; [unrolled: 1-line block ×3, first 2 shown]
	s_waitcnt vmcnt(2)
	v_mul_f64 v[42:43], v[20:21], v[69:70]
	v_mul_f64 v[44:45], v[18:19], v[69:70]
	s_waitcnt vmcnt(0)
	v_mul_f64 v[46:47], v[24:25], v[73:74]
	v_mul_f64 v[48:49], v[22:23], v[73:74]
	s_clause 0x1
	scratch_store_b128 off, v[67:70], off offset:92
	scratch_store_b128 off, v[71:74], off offset:108
	s_load_b64 s[8:9], s[0:1], 0x38
	s_load_b128 s[4:7], s[6:7], 0x0
	v_fma_f64 v[2:3], v[2:3], v[51:52], v[26:27]
	v_fma_f64 v[4:5], v[4:5], v[51:52], -v[28:29]
	v_fma_f64 v[6:7], v[6:7], v[63:64], v[30:31]
	v_fma_f64 v[8:9], v[8:9], v[63:64], -v[32:33]
	v_fma_f64 v[10:11], v[10:11], v[59:60], v[34:35]
	v_fma_f64 v[14:15], v[14:15], v[55:56], v[36:37]
	v_fma_f64 v[16:17], v[16:17], v[55:56], -v[38:39]
	v_fma_f64 v[12:13], v[12:13], v[59:60], -v[40:41]
	v_fma_f64 v[18:19], v[18:19], v[67:68], v[42:43]
	v_fma_f64 v[20:21], v[20:21], v[67:68], -v[44:45]
	v_fma_f64 v[22:23], v[22:23], v[71:72], v[46:47]
	v_fma_f64 v[24:25], v[24:25], v[71:72], -v[48:49]
	ds_store_b128 v255, v[2:5]
	ds_store_b128 v255, v[14:17] offset:3696
	ds_store_b128 v255, v[6:9] offset:9856
	;; [unrolled: 1-line block ×5, first 2 shown]
	s_and_saveexec_b32 s12, vcc_lo
	s_cbranch_execz .LBB0_3
; %bb.2:
	v_add_co_u32 v4, s2, v0, s2
	s_delay_alu instid0(VALU_DEP_1)
	v_add_co_ci_u32_e64 v5, s2, s3, v1, s2
	global_load_b128 v[0:3], v[4:5], off
	s_clause 0x1
	scratch_load_b32 v10, off, off offset:4
	scratch_load_b32 v11, off, off offset:8
	s_waitcnt vmcnt(1)
	v_add_co_u32 v6, s2, 0x1000, v10
	s_waitcnt vmcnt(0)
	v_add_co_ci_u32_e64 v7, s2, 0, v11, s2
	v_add_co_u32 v8, s2, v4, s10
	s_delay_alu instid0(VALU_DEP_1) | instskip(SKIP_1) | instid1(VALU_DEP_1)
	v_add_co_ci_u32_e64 v9, s2, s11, v5, s2
	v_add_co_u32 v16, s2, 0x6000, v10
	v_add_co_ci_u32_e64 v17, s2, 0, v11, s2
	s_delay_alu instid0(VALU_DEP_4) | instskip(NEXT) | instid1(VALU_DEP_1)
	v_add_co_u32 v20, s2, v8, s10
	v_add_co_ci_u32_e64 v21, s2, s11, v9, s2
	global_load_b128 v[4:7], v[6:7], off offset:3296
	global_load_b128 v[8:11], v[8:9], off
	scratch_load_b64 v[12:13], off, off offset:20 ; 8-byte Folded Reload
	s_waitcnt vmcnt(0)
	s_clause 0x1
	global_load_b128 v[12:15], v[12:13], off offset:864
	global_load_b128 v[16:19], v[16:17], off offset:2528
	global_load_b128 v[20:23], v[20:21], off
	v_mul_f64 v[24:25], v[2:3], v[6:7]
	v_mul_f64 v[6:7], v[0:1], v[6:7]
	s_delay_alu instid0(VALU_DEP_2) | instskip(NEXT) | instid1(VALU_DEP_2)
	v_fma_f64 v[0:1], v[0:1], v[4:5], v[24:25]
	v_fma_f64 v[2:3], v[2:3], v[4:5], -v[6:7]
	s_waitcnt vmcnt(2)
	v_mul_f64 v[26:27], v[10:11], v[14:15]
	v_mul_f64 v[14:15], v[8:9], v[14:15]
	s_waitcnt vmcnt(0)
	v_mul_f64 v[28:29], v[22:23], v[18:19]
	v_mul_f64 v[18:19], v[20:21], v[18:19]
	s_delay_alu instid0(VALU_DEP_4) | instskip(NEXT) | instid1(VALU_DEP_4)
	v_fma_f64 v[4:5], v[8:9], v[12:13], v[26:27]
	v_fma_f64 v[6:7], v[10:11], v[12:13], -v[14:15]
	s_delay_alu instid0(VALU_DEP_4) | instskip(NEXT) | instid1(VALU_DEP_4)
	v_fma_f64 v[8:9], v[20:21], v[16:17], v[28:29]
	v_fma_f64 v[10:11], v[22:23], v[16:17], -v[18:19]
	ds_store_b128 v255, v[0:3] offset:7392
	ds_store_b128 v255, v[4:7] offset:17248
	;; [unrolled: 1-line block ×3, first 2 shown]
.LBB0_3:
	s_or_b32 exec_lo, exec_lo, s12
	s_waitcnt lgkmcnt(0)
	s_waitcnt_vscnt null, 0x0
	s_barrier
	buffer_gl0_inv
	ds_load_b128 v[36:39], v255
	ds_load_b128 v[32:35], v255 offset:3696
	ds_load_b128 v[48:51], v255 offset:9856
	;; [unrolled: 1-line block ×5, first 2 shown]
                                        ; implicit-def: $vgpr52_vgpr53
                                        ; implicit-def: $vgpr60_vgpr61
                                        ; implicit-def: $vgpr44_vgpr45
	s_and_saveexec_b32 s2, vcc_lo
	s_cbranch_execz .LBB0_5
; %bb.4:
	ds_load_b128 v[44:47], v255 offset:7392
	ds_load_b128 v[52:55], v255 offset:17248
	;; [unrolled: 1-line block ×3, first 2 shown]
.LBB0_5:
	s_or_b32 exec_lo, exec_lo, s2
	s_waitcnt lgkmcnt(1)
	v_add_f64 v[0:1], v[48:49], v[24:25]
	v_add_f64 v[14:15], v[50:51], -v[26:27]
	v_add_f64 v[18:19], v[32:33], v[40:41]
	v_add_f64 v[22:23], v[52:53], v[44:45]
	s_mov_b32 s2, 0xe8584caa
	s_mov_b32 s3, 0x3febb67a
	;; [unrolled: 1-line block ×4, first 2 shown]
	s_waitcnt lgkmcnt(0)
	v_add_f64 v[4:5], v[40:41], v[28:29]
	v_add_f64 v[8:9], v[52:53], v[60:61]
	;; [unrolled: 1-line block ×3, first 2 shown]
	v_add_f64 v[40:41], v[40:41], -v[28:29]
	v_add_f64 v[52:53], v[52:53], -v[60:61]
	v_add_f64 v[2:3], v[50:51], v[26:27]
	v_add_f64 v[6:7], v[42:43], v[30:31]
	;; [unrolled: 1-line block ×6, first 2 shown]
	v_fma_f64 v[0:1], v[0:1], -0.5, v[36:37]
	v_add_f64 v[36:37], v[48:49], -v[24:25]
	v_add_f64 v[56:57], v[18:19], v[28:29]
	v_add_f64 v[28:29], v[60:61], v[22:23]
	v_fma_f64 v[4:5], v[4:5], -0.5, v[32:33]
	v_fma_f64 v[8:9], v[8:9], -0.5, v[44:45]
	v_add_f64 v[24:25], v[12:13], v[24:25]
	v_fma_f64 v[2:3], v[2:3], -0.5, v[38:39]
	v_add_f64 v[38:39], v[42:43], -v[30:31]
	v_fma_f64 v[6:7], v[6:7], -0.5, v[34:35]
	v_add_f64 v[42:43], v[54:55], -v[62:63]
	v_fma_f64 v[10:11], v[10:11], -0.5, v[46:47]
	v_add_f64 v[26:27], v[16:17], v[26:27]
	v_add_f64 v[58:59], v[20:21], v[30:31]
	;; [unrolled: 1-line block ×3, first 2 shown]
	v_fma_f64 v[60:61], v[14:15], s[2:3], v[0:1]
	v_fma_f64 v[48:49], v[14:15], s[10:11], v[0:1]
	scratch_load_b32 v0, off, off           ; 4-byte Folded Reload
	s_waitcnt vmcnt(0)
	s_barrier
	buffer_gl0_inv
	v_fma_f64 v[62:63], v[36:37], s[10:11], v[2:3]
	v_fma_f64 v[50:51], v[36:37], s[2:3], v[2:3]
	;; [unrolled: 1-line block ×10, first 2 shown]
	s_load_b64 s[2:3], s[0:1], 0x8
	v_add_co_u32 v22, null, 0xe7, v0
	v_mul_u32_u24_e32 v21, 3, v0
	v_add_co_u32 v0, null, 0x1ce, v0
	s_delay_alu instid0(VALU_DEP_3) | instskip(NEXT) | instid1(VALU_DEP_3)
	v_mul_u32_u24_e32 v1, 3, v22
	v_lshlrev_b32_e32 v20, 4, v21
	s_delay_alu instid0(VALU_DEP_3) | instskip(NEXT) | instid1(VALU_DEP_3)
	v_mul_u32_u24_e32 v19, 3, v0
	v_lshlrev_b32_e32 v18, 4, v1
	ds_store_b128 v20, v[24:27]
	ds_store_b128 v20, v[60:63] offset:16
	ds_store_b128 v20, v[48:51] offset:32
	ds_store_b128 v18, v[56:59]
	ds_store_b128 v18, v[36:39] offset:16
	ds_store_b128 v18, v[32:35] offset:32
	s_and_saveexec_b32 s0, vcc_lo
	s_cbranch_execz .LBB0_7
; %bb.6:
	v_lshlrev_b32_e32 v0, 4, v19
	ds_store_b128 v0, v[28:31]
	ds_store_b128 v0, v[40:43] offset:16
	ds_store_b128 v0, v[44:47] offset:32
.LBB0_7:
	s_or_b32 exec_lo, exec_lo, s0
	scratch_load_b32 v0, off, off           ; 4-byte Folded Reload
	s_waitcnt vmcnt(0) lgkmcnt(0)
	s_barrier
	buffer_gl0_inv
                                        ; implicit-def: $vgpr64_vgpr65
                                        ; implicit-def: $vgpr68_vgpr69
	v_cmp_gt_u16_e64 s0, 0xa8, v0
	s_delay_alu instid0(VALU_DEP_1)
	s_and_saveexec_b32 s1, s0
	s_cbranch_execz .LBB0_9
; %bb.8:
	ds_load_b128 v[24:27], v255
	ds_load_b128 v[60:63], v255 offset:2688
	ds_load_b128 v[48:51], v255 offset:5376
	;; [unrolled: 1-line block ×10, first 2 shown]
.LBB0_9:
	s_or_b32 exec_lo, exec_lo, s1
	scratch_load_b32 v1, off, off           ; 4-byte Folded Reload
	s_mov_b32 s26, 0xf8bb580b
	s_mov_b32 s27, 0xbfe14ced
	s_mov_b32 s12, 0x8764f0ba
	s_mov_b32 s20, 0x8eee2c13
	s_mov_b32 s13, 0x3feaeb8c
	s_mov_b32 s21, 0xbfed1bb4
	s_mov_b32 s10, 0xd9c712b6
	s_mov_b32 s11, 0x3fda9628
	s_mov_b32 s16, 0x43842ef
	s_mov_b32 s17, 0xbfefac9e
	s_mov_b32 s14, 0x640f44db
	s_mov_b32 s15, 0xbfc2375f
	s_mov_b32 s24, 0xbb3a28a1
	s_mov_b32 s25, 0xbfe82f19
	s_mov_b32 s18, 0x7f775887
	s_mov_b32 s19, 0xbfe4f49e
	s_mov_b32 s38, 0xfd768dbf
	s_mov_b32 s39, 0x3fd207e7
	s_mov_b32 s37, 0xbfd207e7
	s_mov_b32 s36, s38
	s_mov_b32 s22, 0x9bcd5057
	s_mov_b32 s23, 0xbfeeb42a
	s_mov_b32 s35, 0x3fefac9e
	s_mov_b32 s34, s16
	s_mov_b32 s29, 0x3fe14ced
	s_mov_b32 s28, s26
	s_mov_b32 s31, 0x3fed1bb4
	s_mov_b32 s30, s20
	s_waitcnt vmcnt(0)
	v_and_b32_e32 v23, 0xff, v1
	s_delay_alu instid0(VALU_DEP_1) | instskip(NEXT) | instid1(VALU_DEP_1)
	v_mul_lo_u16 v0, 0xab, v23
	v_lshrrev_b16 v196, 9, v0
	s_delay_alu instid0(VALU_DEP_1) | instskip(SKIP_1) | instid1(VALU_DEP_2)
	v_mul_lo_u16 v0, v196, 3
	v_and_b32_e32 v196, 0xffff, v196
	v_sub_nc_u16 v0, v1, v0
	s_delay_alu instid0(VALU_DEP_1) | instskip(SKIP_2) | instid1(VALU_DEP_1)
	v_and_b32_e32 v0, 0xff, v0
	scratch_store_b32 off, v0, off offset:124 ; 4-byte Folded Spill
	v_mul_u32_u24_e32 v0, 10, v0
	v_lshlrev_b32_e32 v2, 4, v0
	s_clause 0x3
	global_load_b128 v[52:55], v2, s[2:3]
	global_load_b128 v[76:79], v2, s[2:3] offset:16
	global_load_b128 v[84:87], v2, s[2:3] offset:144
	global_load_b128 v[80:83], v2, s[2:3] offset:128
	s_waitcnt vmcnt(3) lgkmcnt(9)
	v_mul_f64 v[0:1], v[62:63], v[54:55]
	s_delay_alu instid0(VALU_DEP_1) | instskip(SKIP_1) | instid1(VALU_DEP_1)
	v_fma_f64 v[108:109], v[60:61], v[52:53], -v[0:1]
	v_mul_f64 v[0:1], v[60:61], v[54:55]
	v_fma_f64 v[110:111], v[62:63], v[52:53], v[0:1]
	s_waitcnt vmcnt(1) lgkmcnt(0)
	v_mul_f64 v[0:1], v[68:69], v[86:87]
	s_delay_alu instid0(VALU_DEP_1) | instskip(SKIP_1) | instid1(VALU_DEP_2)
	v_fma_f64 v[88:89], v[70:71], v[84:85], v[0:1]
	v_mul_f64 v[0:1], v[70:71], v[86:87]
	v_add_f64 v[174:175], v[110:111], -v[88:89]
	s_delay_alu instid0(VALU_DEP_2) | instskip(SKIP_1) | instid1(VALU_DEP_3)
	v_fma_f64 v[90:91], v[68:69], v[84:85], -v[0:1]
	v_mul_f64 v[0:1], v[50:51], v[78:79]
	v_mul_f64 v[168:169], v[174:175], s[26:27]
	s_delay_alu instid0(VALU_DEP_3) | instskip(NEXT) | instid1(VALU_DEP_3)
	v_add_f64 v[172:173], v[108:109], v[90:91]
	v_fma_f64 v[96:97], v[48:49], v[76:77], -v[0:1]
	v_mul_f64 v[0:1], v[48:49], v[78:79]
	v_add_f64 v[4:5], v[108:109], -v[90:91]
	s_delay_alu instid0(VALU_DEP_2)
	v_fma_f64 v[98:99], v[50:51], v[76:77], v[0:1]
	s_clause 0x1
	global_load_b128 v[60:63], v2, s[2:3] offset:32
	global_load_b128 v[48:51], v2, s[2:3] offset:48
	s_waitcnt vmcnt(2)
	v_mul_f64 v[0:1], v[64:65], v[82:83]
	s_delay_alu instid0(VALU_DEP_1) | instskip(SKIP_1) | instid1(VALU_DEP_2)
	v_fma_f64 v[92:93], v[66:67], v[80:81], v[0:1]
	v_mul_f64 v[0:1], v[66:67], v[82:83]
	v_add_f64 v[164:165], v[98:99], -v[92:93]
	s_delay_alu instid0(VALU_DEP_2)
	v_fma_f64 v[94:95], v[64:65], v[80:81], -v[0:1]
	s_clause 0x1
	global_load_b128 v[72:75], v2, s[2:3] offset:112
	global_load_b128 v[64:67], v2, s[2:3] offset:96
	v_add_f64 v[128:129], v[98:99], v[92:93]
	v_mul_f64 v[176:177], v[164:165], s[24:25]
	v_add_f64 v[136:137], v[96:97], -v[94:95]
	v_mul_f64 v[188:189], v[164:165], s[38:39]
	v_mul_f64 v[205:206], v[164:165], s[34:35]
	s_delay_alu instid0(VALU_DEP_3) | instskip(SKIP_3) | instid1(VALU_DEP_4)
	v_mul_f64 v[130:131], v[136:137], s[20:21]
	v_mul_f64 v[182:183], v[136:137], s[24:25]
	;; [unrolled: 1-line block ×4, first 2 shown]
	v_fma_f64 v[10:11], v[128:129], s[10:11], -v[130:131]
	s_delay_alu instid0(VALU_DEP_4) | instskip(NEXT) | instid1(VALU_DEP_4)
	v_fma_f64 v[14:15], v[128:129], s[18:19], -v[182:183]
	v_fma_f64 v[112:113], v[128:129], s[22:23], -v[203:204]
	s_delay_alu instid0(VALU_DEP_4) | instskip(SKIP_2) | instid1(VALU_DEP_1)
	v_fma_f64 v[197:198], v[128:129], s[14:15], -v[221:222]
	s_waitcnt vmcnt(3)
	v_mul_f64 v[0:1], v[58:59], v[62:63]
	v_fma_f64 v[100:101], v[56:57], v[60:61], -v[0:1]
	v_mul_f64 v[0:1], v[56:57], v[62:63]
	s_delay_alu instid0(VALU_DEP_1)
	v_fma_f64 v[102:103], v[58:59], v[60:61], v[0:1]
	s_clause 0x1
	global_load_b128 v[56:59], v2, s[2:3] offset:64
	global_load_b128 v[68:71], v2, s[2:3] offset:80
	s_waitcnt vmcnt(3)
	v_mul_f64 v[0:1], v[44:45], v[74:75]
	scratch_store_b32 off, v196, off offset:128 ; 4-byte Folded Spill
	s_waitcnt vmcnt(0)
	s_waitcnt_vscnt null, 0x0
	s_barrier
	buffer_gl0_inv
	v_fma_f64 v[104:105], v[46:47], v[72:73], v[0:1]
	v_mul_f64 v[0:1], v[46:47], v[74:75]
	s_delay_alu instid0(VALU_DEP_2) | instskip(NEXT) | instid1(VALU_DEP_2)
	v_add_f64 v[170:171], v[102:103], -v[104:105]
	v_fma_f64 v[44:45], v[44:45], v[72:73], -v[0:1]
	v_mul_f64 v[0:1], v[38:39], v[50:51]
	v_add_f64 v[138:139], v[102:103], v[104:105]
	s_delay_alu instid0(VALU_DEP_4) | instskip(NEXT) | instid1(VALU_DEP_4)
	v_mul_f64 v[134:135], v[170:171], s[16:17]
	v_add_f64 v[132:133], v[100:101], v[44:45]
	s_delay_alu instid0(VALU_DEP_4)
	v_fma_f64 v[46:47], v[36:37], v[48:49], -v[0:1]
	v_mul_f64 v[0:1], v[36:37], v[50:51]
	v_add_f64 v[146:147], v[100:101], -v[44:45]
	v_mul_f64 v[180:181], v[170:171], s[38:39]
	v_mul_f64 v[199:200], v[170:171], s[30:31]
	;; [unrolled: 1-line block ×3, first 2 shown]
	v_fma_f64 v[106:107], v[38:39], v[48:49], v[0:1]
	v_mul_f64 v[0:1], v[42:43], v[66:67]
	v_mul_f64 v[140:141], v[146:147], s[16:17]
	;; [unrolled: 1-line block ×5, first 2 shown]
	v_fma_f64 v[36:37], v[40:41], v[64:65], -v[0:1]
	v_mul_f64 v[0:1], v[40:41], v[66:67]
	s_delay_alu instid0(VALU_DEP_2) | instskip(NEXT) | instid1(VALU_DEP_2)
	v_add_f64 v[142:143], v[46:47], v[36:37]
	v_fma_f64 v[38:39], v[42:43], v[64:65], v[0:1]
	v_mul_f64 v[42:43], v[164:165], s[20:21]
	v_add_f64 v[160:161], v[46:47], -v[36:37]
	s_delay_alu instid0(VALU_DEP_3) | instskip(SKIP_1) | instid1(VALU_DEP_3)
	v_add_f64 v[166:167], v[106:107], -v[38:39]
	v_add_f64 v[152:153], v[106:107], v[38:39]
	v_mul_f64 v[154:155], v[160:161], s[24:25]
	v_mul_f64 v[192:193], v[160:161], s[34:35]
	;; [unrolled: 1-line block ×9, first 2 shown]
	s_delay_alu instid0(VALU_DEP_1) | instskip(SKIP_1) | instid1(VALU_DEP_1)
	v_fma_f64 v[40:41], v[32:33], v[56:57], -v[0:1]
	v_mul_f64 v[0:1], v[32:33], v[58:59]
	v_fma_f64 v[34:35], v[34:35], v[56:57], v[0:1]
	v_mul_f64 v[0:1], v[30:31], v[70:71]
	s_delay_alu instid0(VALU_DEP_1) | instskip(SKIP_1) | instid1(VALU_DEP_2)
	v_fma_f64 v[32:33], v[28:29], v[68:69], -v[0:1]
	v_mul_f64 v[0:1], v[28:29], v[70:71]
	v_add_f64 v[148:149], v[40:41], v[32:33]
	s_delay_alu instid0(VALU_DEP_2) | instskip(SKIP_3) | instid1(VALU_DEP_4)
	v_fma_f64 v[28:29], v[30:31], v[68:69], v[0:1]
	v_fma_f64 v[0:1], v[172:173], s[12:13], v[168:169]
	v_add_f64 v[30:31], v[96:97], v[94:95]
	v_add_f64 v[162:163], v[40:41], -v[32:33]
	v_add_f64 v[178:179], v[34:35], -v[28:29]
	s_delay_alu instid0(VALU_DEP_4) | instskip(NEXT) | instid1(VALU_DEP_4)
	v_add_f64 v[0:1], v[24:25], v[0:1]
	v_fma_f64 v[2:3], v[30:31], s[10:11], v[42:43]
	v_add_f64 v[156:157], v[34:35], v[28:29]
	v_mul_f64 v[158:159], v[162:163], s[36:37]
	v_mul_f64 v[194:195], v[162:163], s[28:29]
	;; [unrolled: 1-line block ×6, first 2 shown]
	v_add_f64 v[6:7], v[2:3], v[0:1]
	v_add_f64 v[2:3], v[110:111], v[88:89]
	v_mul_f64 v[0:1], v[4:5], s[26:27]
	v_mul_f64 v[201:202], v[178:179], s[24:25]
	;; [unrolled: 1-line block ×3, first 2 shown]
	s_delay_alu instid0(VALU_DEP_3) | instskip(NEXT) | instid1(VALU_DEP_1)
	v_fma_f64 v[8:9], v[2:3], s[12:13], -v[0:1]
	v_add_f64 v[8:9], v[26:27], v[8:9]
	s_delay_alu instid0(VALU_DEP_1) | instskip(SKIP_1) | instid1(VALU_DEP_1)
	v_add_f64 v[8:9], v[10:11], v[8:9]
	v_fma_f64 v[10:11], v[132:133], s[14:15], v[134:135]
	v_add_f64 v[6:7], v[10:11], v[6:7]
	v_fma_f64 v[10:11], v[138:139], s[14:15], -v[140:141]
	s_delay_alu instid0(VALU_DEP_1) | instskip(SKIP_1) | instid1(VALU_DEP_1)
	v_add_f64 v[8:9], v[10:11], v[8:9]
	v_fma_f64 v[10:11], v[142:143], s[18:19], v[144:145]
	v_add_f64 v[6:7], v[10:11], v[6:7]
	v_fma_f64 v[10:11], v[152:153], s[18:19], -v[154:155]
	s_delay_alu instid0(VALU_DEP_1) | instskip(SKIP_1) | instid1(VALU_DEP_1)
	v_add_f64 v[8:9], v[10:11], v[8:9]
	v_fma_f64 v[10:11], v[148:149], s[22:23], v[150:151]
	v_add_f64 v[116:117], v[10:11], v[6:7]
	v_fma_f64 v[6:7], v[156:157], s[22:23], -v[158:159]
	v_fma_f64 v[10:11], v[30:31], s[18:19], v[176:177]
	s_delay_alu instid0(VALU_DEP_2) | instskip(SKIP_1) | instid1(VALU_DEP_1)
	v_add_f64 v[118:119], v[6:7], v[8:9]
	v_mul_f64 v[6:7], v[174:175], s[20:21]
	v_fma_f64 v[8:9], v[172:173], s[10:11], v[6:7]
	s_delay_alu instid0(VALU_DEP_1) | instskip(NEXT) | instid1(VALU_DEP_1)
	v_add_f64 v[8:9], v[24:25], v[8:9]
	v_add_f64 v[10:11], v[10:11], v[8:9]
	v_mul_f64 v[8:9], v[4:5], s[20:21]
	s_delay_alu instid0(VALU_DEP_1) | instskip(NEXT) | instid1(VALU_DEP_1)
	v_fma_f64 v[12:13], v[2:3], s[10:11], -v[8:9]
	v_add_f64 v[12:13], v[26:27], v[12:13]
	s_delay_alu instid0(VALU_DEP_1) | instskip(SKIP_1) | instid1(VALU_DEP_1)
	v_add_f64 v[12:13], v[14:15], v[12:13]
	v_fma_f64 v[14:15], v[132:133], s[22:23], v[180:181]
	v_add_f64 v[10:11], v[14:15], v[10:11]
	v_fma_f64 v[14:15], v[138:139], s[22:23], -v[190:191]
	s_delay_alu instid0(VALU_DEP_1) | instskip(SKIP_1) | instid1(VALU_DEP_1)
	v_add_f64 v[12:13], v[14:15], v[12:13]
	v_fma_f64 v[14:15], v[142:143], s[14:15], v[184:185]
	v_add_f64 v[10:11], v[14:15], v[10:11]
	v_fma_f64 v[14:15], v[152:153], s[14:15], -v[192:193]
	s_delay_alu instid0(VALU_DEP_1) | instskip(SKIP_1) | instid1(VALU_DEP_1)
	v_add_f64 v[12:13], v[14:15], v[12:13]
	v_fma_f64 v[14:15], v[148:149], s[12:13], v[186:187]
	v_add_f64 v[120:121], v[14:15], v[10:11]
	v_fma_f64 v[10:11], v[156:157], s[12:13], -v[194:195]
	v_fma_f64 v[14:15], v[30:31], s[22:23], v[188:189]
	s_delay_alu instid0(VALU_DEP_2) | instskip(SKIP_1) | instid1(VALU_DEP_1)
	v_add_f64 v[122:123], v[10:11], v[12:13]
	v_mul_f64 v[10:11], v[174:175], s[16:17]
	v_fma_f64 v[12:13], v[172:173], s[14:15], v[10:11]
	s_delay_alu instid0(VALU_DEP_1) | instskip(NEXT) | instid1(VALU_DEP_1)
	v_add_f64 v[12:13], v[24:25], v[12:13]
	v_add_f64 v[14:15], v[14:15], v[12:13]
	v_mul_f64 v[12:13], v[4:5], s[16:17]
	s_delay_alu instid0(VALU_DEP_1) | instskip(NEXT) | instid1(VALU_DEP_1)
	;; [unrolled: 27-line block ×3, first 2 shown]
	v_fma_f64 v[114:115], v[2:3], s[18:19], -v[16:17]
	v_add_f64 v[114:115], v[26:27], v[114:115]
	s_delay_alu instid0(VALU_DEP_1) | instskip(SKIP_1) | instid1(VALU_DEP_1)
	v_add_f64 v[114:115], v[197:198], v[114:115]
	v_fma_f64 v[197:198], v[132:133], s[12:13], v[211:212]
	v_add_f64 v[112:113], v[197:198], v[112:113]
	v_fma_f64 v[197:198], v[138:139], s[12:13], -v[223:224]
	s_delay_alu instid0(VALU_DEP_1) | instskip(SKIP_1) | instid1(VALU_DEP_1)
	v_add_f64 v[114:115], v[197:198], v[114:115]
	v_fma_f64 v[197:198], v[142:143], s[22:23], v[219:220]
	v_add_f64 v[112:113], v[197:198], v[112:113]
	v_fma_f64 v[197:198], v[152:153], s[22:23], -v[225:226]
	;; [unrolled: 5-line block ×3, first 2 shown]
	s_delay_alu instid0(VALU_DEP_1)
	v_add_f64 v[114:115], v[197:198], v[114:115]
	s_and_saveexec_b32 s1, s0
	s_cbranch_execz .LBB0_11
; %bb.10:
	v_mul_f64 v[196:197], v[2:3], s[22:23]
	v_mul_f64 v[166:167], v[166:167], s[30:31]
	s_delay_alu instid0(VALU_DEP_2) | instskip(SKIP_2) | instid1(VALU_DEP_1)
	v_fma_f64 v[229:230], v[4:5], s[38:39], v[196:197]
	v_fma_f64 v[4:5], v[4:5], s[36:37], v[196:197]
	v_mul_f64 v[196:197], v[2:3], s[18:19]
	v_add_f64 v[16:17], v[16:17], v[196:197]
	v_mul_f64 v[196:197], v[2:3], s[14:15]
	s_delay_alu instid0(VALU_DEP_2) | instskip(NEXT) | instid1(VALU_DEP_2)
	v_add_f64 v[16:17], v[26:27], v[16:17]
	v_add_f64 v[12:13], v[12:13], v[196:197]
	v_mul_f64 v[196:197], v[2:3], s[10:11]
	v_mul_f64 v[2:3], v[2:3], s[12:13]
	s_delay_alu instid0(VALU_DEP_3) | instskip(NEXT) | instid1(VALU_DEP_3)
	v_add_f64 v[12:13], v[26:27], v[12:13]
	v_add_f64 v[8:9], v[8:9], v[196:197]
	v_mul_f64 v[196:197], v[172:173], s[10:11]
	s_delay_alu instid0(VALU_DEP_4) | instskip(SKIP_1) | instid1(VALU_DEP_3)
	v_add_f64 v[0:1], v[0:1], v[2:3]
	v_mul_f64 v[2:3], v[174:175], s[36:37]
	v_add_f64 v[6:7], v[196:197], -v[6:7]
	v_mul_f64 v[196:197], v[172:173], s[14:15]
	s_delay_alu instid0(VALU_DEP_3)
	v_fma_f64 v[174:175], v[172:173], s[22:23], v[2:3]
	v_fma_f64 v[2:3], v[172:173], s[22:23], -v[2:3]
	v_add_f64 v[231:232], v[26:27], v[0:1]
	v_add_f64 v[6:7], v[24:25], v[6:7]
	v_add_f64 v[10:11], v[196:197], -v[10:11]
	v_mul_f64 v[196:197], v[172:173], s[18:19]
	v_mul_f64 v[172:173], v[172:173], s[12:13]
	s_delay_alu instid0(VALU_DEP_2) | instskip(NEXT) | instid1(VALU_DEP_2)
	v_add_f64 v[14:15], v[196:197], -v[14:15]
	v_add_f64 v[168:169], v[172:173], -v[168:169]
	v_add_f64 v[172:173], v[26:27], v[110:111]
	v_add_f64 v[196:197], v[24:25], v[108:109]
	;; [unrolled: 1-line block ×8, first 2 shown]
	v_mul_f64 v[26:27], v[164:165], s[28:29]
	v_mul_f64 v[164:165], v[152:153], s[10:11]
	v_add_f64 v[14:15], v[24:25], v[14:15]
	v_add_f64 v[168:169], v[24:25], v[168:169]
	v_mul_f64 v[24:25], v[128:129], s[12:13]
	v_fma_f64 v[2:3], v[30:31], s[12:13], v[26:27]
	v_fma_f64 v[26:27], v[30:31], s[12:13], -v[26:27]
	s_delay_alu instid0(VALU_DEP_3) | instskip(SKIP_2) | instid1(VALU_DEP_3)
	v_fma_f64 v[0:1], v[136:137], s[26:27], v[24:25]
	s_mov_b32 s27, 0x3fe82f19
	s_mov_b32 s26, s24
	v_add_f64 v[2:3], v[2:3], v[110:111]
	v_mul_f64 v[110:111], v[170:171], s[24:25]
	v_mul_f64 v[170:171], v[178:179], s[16:17]
	;; [unrolled: 1-line block ×3, first 2 shown]
	v_add_f64 v[26:27], v[26:27], v[229:230]
	v_add_f64 v[0:1], v[0:1], v[108:109]
	v_mul_f64 v[108:109], v[138:139], s[18:19]
	s_delay_alu instid0(VALU_DEP_1) | instskip(NEXT) | instid1(VALU_DEP_1)
	v_fma_f64 v[10:11], v[146:147], s[26:27], v[108:109]
	v_add_f64 v[0:1], v[10:11], v[0:1]
	v_fma_f64 v[10:11], v[132:133], s[18:19], v[110:111]
	s_delay_alu instid0(VALU_DEP_1) | instskip(SKIP_1) | instid1(VALU_DEP_1)
	v_add_f64 v[2:3], v[10:11], v[2:3]
	v_fma_f64 v[10:11], v[160:161], s[20:21], v[164:165]
	v_add_f64 v[0:1], v[10:11], v[0:1]
	v_fma_f64 v[10:11], v[142:143], s[10:11], v[166:167]
	s_delay_alu instid0(VALU_DEP_1) | instskip(SKIP_1) | instid1(VALU_DEP_1)
	v_add_f64 v[10:11], v[10:11], v[2:3]
	v_fma_f64 v[2:3], v[162:163], s[34:35], v[178:179]
	v_add_f64 v[2:3], v[2:3], v[0:1]
	v_fma_f64 v[0:1], v[148:149], s[14:15], v[170:171]
	s_delay_alu instid0(VALU_DEP_1) | instskip(SKIP_1) | instid1(VALU_DEP_1)
	v_add_f64 v[0:1], v[0:1], v[10:11]
	v_mul_f64 v[10:11], v[128:129], s[18:19]
	v_add_f64 v[10:11], v[182:183], v[10:11]
	v_mul_f64 v[182:183], v[30:31], s[18:19]
	s_delay_alu instid0(VALU_DEP_2) | instskip(NEXT) | instid1(VALU_DEP_2)
	v_add_f64 v[4:5], v[10:11], v[4:5]
	v_add_f64 v[176:177], v[182:183], -v[176:177]
	v_mul_f64 v[182:183], v[138:139], s[22:23]
	v_mul_f64 v[10:11], v[156:157], s[12:13]
	s_delay_alu instid0(VALU_DEP_3) | instskip(NEXT) | instid1(VALU_DEP_3)
	v_add_f64 v[6:7], v[176:177], v[6:7]
	v_add_f64 v[182:183], v[190:191], v[182:183]
	v_mul_f64 v[190:191], v[132:133], s[22:23]
	s_delay_alu instid0(VALU_DEP_4) | instskip(SKIP_1) | instid1(VALU_DEP_4)
	v_add_f64 v[10:11], v[194:195], v[10:11]
	v_mul_f64 v[176:177], v[148:149], s[12:13]
	v_add_f64 v[4:5], v[182:183], v[4:5]
	s_delay_alu instid0(VALU_DEP_4) | instskip(SKIP_1) | instid1(VALU_DEP_4)
	v_add_f64 v[180:181], v[190:191], -v[180:181]
	v_mul_f64 v[190:191], v[152:153], s[14:15]
	v_add_f64 v[176:177], v[176:177], -v[186:187]
	v_mul_f64 v[182:183], v[132:133], s[10:11]
	v_mul_f64 v[186:187], v[142:143], s[12:13]
	v_add_f64 v[6:7], v[180:181], v[6:7]
	v_add_f64 v[190:191], v[192:193], v[190:191]
	v_mul_f64 v[192:193], v[142:143], s[14:15]
	v_add_f64 v[182:183], v[182:183], -v[199:200]
	v_add_f64 v[186:187], v[186:187], -v[207:208]
	s_delay_alu instid0(VALU_DEP_4) | instskip(NEXT) | instid1(VALU_DEP_4)
	v_add_f64 v[4:5], v[190:191], v[4:5]
	v_add_f64 v[184:185], v[192:193], -v[184:185]
	s_delay_alu instid0(VALU_DEP_1) | instskip(NEXT) | instid1(VALU_DEP_3)
	v_add_f64 v[180:181], v[184:185], v[6:7]
	v_add_f64 v[6:7], v[10:11], v[4:5]
	v_mul_f64 v[10:11], v[128:129], s[22:23]
	v_mul_f64 v[184:185], v[152:153], s[12:13]
	s_delay_alu instid0(VALU_DEP_4) | instskip(SKIP_1) | instid1(VALU_DEP_4)
	v_add_f64 v[4:5], v[176:177], v[180:181]
	v_mul_f64 v[176:177], v[30:31], s[22:23]
	v_add_f64 v[10:11], v[203:204], v[10:11]
	v_mul_f64 v[180:181], v[138:139], s[10:11]
	v_add_f64 v[184:185], v[213:214], v[184:185]
	s_delay_alu instid0(VALU_DEP_4) | instskip(NEXT) | instid1(VALU_DEP_4)
	v_add_f64 v[176:177], v[176:177], -v[188:189]
	v_add_f64 v[10:11], v[10:11], v[12:13]
	s_delay_alu instid0(VALU_DEP_4) | instskip(SKIP_1) | instid1(VALU_DEP_4)
	v_add_f64 v[180:181], v[209:210], v[180:181]
	v_mul_f64 v[12:13], v[156:157], s[18:19]
	v_add_f64 v[8:9], v[176:177], v[8:9]
	v_mul_f64 v[176:177], v[148:149], s[18:19]
	s_delay_alu instid0(VALU_DEP_4) | instskip(NEXT) | instid1(VALU_DEP_4)
	v_add_f64 v[10:11], v[180:181], v[10:11]
	v_add_f64 v[12:13], v[217:218], v[12:13]
	v_mul_f64 v[180:181], v[138:139], s[12:13]
	v_add_f64 v[8:9], v[182:183], v[8:9]
	v_add_f64 v[176:177], v[176:177], -v[201:202]
	v_add_f64 v[10:11], v[184:185], v[10:11]
	v_mul_f64 v[182:183], v[132:133], s[12:13]
	v_add_f64 v[180:181], v[223:224], v[180:181]
	v_mul_f64 v[184:185], v[152:153], s[22:23]
	;; [unrolled: 2-line block ×4, first 2 shown]
	v_add_f64 v[182:183], v[182:183], -v[211:212]
	v_add_f64 v[184:185], v[225:226], v[184:185]
	v_add_f64 v[8:9], v[176:177], v[8:9]
	v_mul_f64 v[176:177], v[30:31], s[14:15]
	v_add_f64 v[186:187], v[186:187], -v[219:220]
	v_add_f64 v[12:13], v[221:222], v[12:13]
	v_mul_f64 v[30:31], v[30:31], s[10:11]
	s_delay_alu instid0(VALU_DEP_4) | instskip(NEXT) | instid1(VALU_DEP_3)
	v_add_f64 v[176:177], v[176:177], -v[205:206]
	v_add_f64 v[12:13], v[12:13], v[16:17]
	v_mul_f64 v[16:17], v[156:157], s[10:11]
	s_delay_alu instid0(VALU_DEP_4)
	v_add_f64 v[30:31], v[30:31], -v[42:43]
	v_mul_f64 v[42:43], v[138:139], s[14:15]
	v_add_f64 v[14:15], v[176:177], v[14:15]
	v_mul_f64 v[176:177], v[148:149], s[10:11]
	v_add_f64 v[12:13], v[180:181], v[12:13]
	v_add_f64 v[16:17], v[227:228], v[16:17]
	;; [unrolled: 1-line block ×5, first 2 shown]
	v_add_f64 v[176:177], v[176:177], -v[215:216]
	v_add_f64 v[12:13], v[184:185], v[12:13]
	s_delay_alu instid0(VALU_DEP_3) | instskip(NEXT) | instid1(VALU_DEP_2)
	v_add_f64 v[180:181], v[186:187], v[14:15]
	v_add_f64 v[14:15], v[16:17], v[12:13]
	v_fma_f64 v[16:17], v[136:137], s[28:29], v[24:25]
	v_fma_f64 v[24:25], v[146:147], s[24:25], v[108:109]
	;; [unrolled: 1-line block ×4, first 2 shown]
	v_add_f64 v[12:13], v[176:177], v[180:181]
	v_add_f64 v[16:17], v[16:17], v[174:175]
	s_delay_alu instid0(VALU_DEP_1) | instskip(SKIP_2) | instid1(VALU_DEP_3)
	v_add_f64 v[16:17], v[24:25], v[16:17]
	v_fma_f64 v[24:25], v[132:133], s[18:19], -v[110:111]
	v_mul_f64 v[110:111], v[152:153], s[18:19]
	v_add_f64 v[16:17], v[108:109], v[16:17]
	s_delay_alu instid0(VALU_DEP_3) | instskip(SKIP_1) | instid1(VALU_DEP_4)
	v_add_f64 v[24:25], v[24:25], v[26:27]
	v_fma_f64 v[26:27], v[142:143], s[10:11], -v[166:167]
	v_add_f64 v[110:111], v[154:155], v[110:111]
	v_fma_f64 v[108:109], v[148:149], s[14:15], -v[170:171]
	s_delay_alu instid0(VALU_DEP_3) | instskip(SKIP_3) | instid1(VALU_DEP_4)
	v_add_f64 v[24:25], v[26:27], v[24:25]
	v_add_f64 v[26:27], v[136:137], v[16:17]
	v_mul_f64 v[16:17], v[128:129], s[10:11]
	v_mul_f64 v[128:129], v[142:143], s[18:19]
	v_add_f64 v[24:25], v[108:109], v[24:25]
	v_mul_f64 v[108:109], v[132:133], s[14:15]
	s_delay_alu instid0(VALU_DEP_4) | instskip(SKIP_2) | instid1(VALU_DEP_4)
	v_add_f64 v[16:17], v[130:131], v[16:17]
	v_mul_f64 v[130:131], v[156:157], s[22:23]
	v_add_f64 v[128:129], v[128:129], -v[144:145]
	v_add_f64 v[108:109], v[108:109], -v[134:135]
	s_delay_alu instid0(VALU_DEP_4) | instskip(NEXT) | instid1(VALU_DEP_4)
	v_add_f64 v[16:17], v[16:17], v[231:232]
	v_add_f64 v[130:131], v[158:159], v[130:131]
	s_delay_alu instid0(VALU_DEP_3) | instskip(NEXT) | instid1(VALU_DEP_3)
	v_add_f64 v[30:31], v[108:109], v[30:31]
	v_add_f64 v[16:17], v[42:43], v[16:17]
	v_mul_f64 v[42:43], v[148:149], s[22:23]
	s_delay_alu instid0(VALU_DEP_3) | instskip(NEXT) | instid1(VALU_DEP_3)
	v_add_f64 v[30:31], v[128:129], v[30:31]
	v_add_f64 v[16:17], v[110:111], v[16:17]
	s_delay_alu instid0(VALU_DEP_3) | instskip(NEXT) | instid1(VALU_DEP_2)
	v_add_f64 v[42:43], v[42:43], -v[150:151]
	v_add_f64 v[110:111], v[130:131], v[16:17]
	v_add_f64 v[16:17], v[172:173], v[98:99]
	s_delay_alu instid0(VALU_DEP_3) | instskip(SKIP_1) | instid1(VALU_DEP_3)
	v_add_f64 v[108:109], v[42:43], v[30:31]
	v_add_f64 v[30:31], v[196:197], v[96:97]
	;; [unrolled: 1-line block ×3, first 2 shown]
	s_delay_alu instid0(VALU_DEP_2) | instskip(NEXT) | instid1(VALU_DEP_2)
	v_add_f64 v[30:31], v[30:31], v[100:101]
	v_add_f64 v[16:17], v[16:17], v[106:107]
	s_delay_alu instid0(VALU_DEP_2) | instskip(NEXT) | instid1(VALU_DEP_2)
	v_add_f64 v[30:31], v[30:31], v[46:47]
	v_add_f64 v[16:17], v[16:17], v[34:35]
	;; [unrolled: 3-line block ×7, first 2 shown]
	s_clause 0x1
	scratch_load_b32 v16, off, off offset:128
	scratch_load_b32 v17, off, off offset:124
	v_add_f64 v[28:29], v[28:29], v[90:91]
	s_waitcnt vmcnt(1)
	v_mul_u32_u24_e32 v16, 33, v16
	s_waitcnt vmcnt(0)
	s_delay_alu instid0(VALU_DEP_1)
	v_add_lshl_u32 v16, v16, v17, 4
	ds_store_b128 v16, v[4:7] offset:96
	ds_store_b128 v16, v[124:127] offset:384
	;; [unrolled: 1-line block ×9, first 2 shown]
	ds_store_b128 v16, v[28:31]
	ds_store_b128 v16, v[116:119] offset:480
.LBB0_11:
	s_or_b32 exec_lo, exec_lo, s1
	s_waitcnt lgkmcnt(0)
	s_barrier
	buffer_gl0_inv
	ds_load_b128 v[128:131], v255
	ds_load_b128 v[148:151], v255 offset:4224
	ds_load_b128 v[144:147], v255 offset:8448
	;; [unrolled: 1-line block ×6, first 2 shown]
	scratch_load_b32 v0, off, off           ; 4-byte Folded Reload
                                        ; implicit-def: $vgpr156_vgpr157
                                        ; implicit-def: $vgpr160_vgpr161
                                        ; implicit-def: $vgpr164_vgpr165
	s_waitcnt vmcnt(0)
	v_cmp_gt_u16_e64 s1, 33, v0
	s_delay_alu instid0(VALU_DEP_1)
	s_and_saveexec_b32 s10, s1
	s_cbranch_execz .LBB0_13
; %bb.12:
	ds_load_b128 v[112:115], v255 offset:3696
	ds_load_b128 v[124:127], v255 offset:7920
	;; [unrolled: 1-line block ×7, first 2 shown]
.LBB0_13:
	s_or_b32 exec_lo, exec_lo, s10
	scratch_load_b32 v2, off, off           ; 4-byte Folded Reload
	v_mul_lo_u16 v0, 0xf9, v23
	v_and_b32_e32 v1, 0xffff, v22
	s_mov_b32 s12, 0x36b3c0b5
	s_mov_b32 s14, 0xe976ee23
	;; [unrolled: 1-line block ×3, first 2 shown]
	v_lshrrev_b16 v17, 13, v0
	v_mul_u32_u24_e32 v0, 0xf83f, v1
	s_mov_b32 s13, 0x3fac98ee
	s_mov_b32 s15, 0xbfe11646
	s_mov_b32 s17, 0x3febfeb5
	v_mul_lo_u16 v1, v17, 33
	v_lshrrev_b32_e32 v0, 21, v0
	s_mov_b32 s18, 0xaaaaaaaa
	s_mov_b32 s20, 0xb247c609
	;; [unrolled: 1-line block ×4, first 2 shown]
	v_mul_lo_u16 v0, v0, 33
	s_mov_b32 s23, 0xbfd5d0dc
	s_mov_b32 s22, s20
	v_and_b32_e32 v17, 0xffff, v17
	s_delay_alu instid0(VALU_DEP_2) | instskip(NEXT) | instid1(VALU_DEP_2)
	v_sub_nc_u16 v0, v22, v0
	v_mul_u32_u24_e32 v17, 0xe7, v17
	s_delay_alu instid0(VALU_DEP_2) | instskip(SKIP_1) | instid1(VALU_DEP_2)
	v_mul_lo_u16 v3, 0x60, v0
	v_and_b32_e32 v0, 0xffff, v0
	v_and_b32_e32 v3, 0xffff, v3
	s_delay_alu instid0(VALU_DEP_1) | instskip(NEXT) | instid1(VALU_DEP_1)
	v_add_co_u32 v3, s10, s2, v3
	v_add_co_ci_u32_e64 v4, null, s3, 0, s10
	s_mov_b32 s10, 0x37e14327
	s_mov_b32 s11, 0x3fe948f6
	s_waitcnt vmcnt(0)
	v_sub_nc_u16 v1, v2, v1
	s_delay_alu instid0(VALU_DEP_1) | instskip(NEXT) | instid1(VALU_DEP_1)
	v_and_b32_e32 v190, 0xff, v1
	v_mad_u64_u32 v[1:2], null, 0x60, v190, s[2:3]
	v_add_lshl_u32 v196, v17, v190, 4
	s_clause 0xb
	global_load_b128 v[100:103], v[1:2], off offset:480
	global_load_b128 v[96:99], v[1:2], off offset:496
	;; [unrolled: 1-line block ×12, first 2 shown]
	s_waitcnt vmcnt(0) lgkmcnt(0)
	s_barrier
	buffer_gl0_inv
	v_mul_f64 v[22:23], v[126:127], v[30:31]
	v_mul_f64 v[168:169], v[124:125], v[30:31]
	;; [unrolled: 1-line block ×20, first 2 shown]
	v_fma_f64 v[22:23], v[124:125], v[28:29], -v[22:23]
	v_fma_f64 v[124:125], v[126:127], v[28:29], v[168:169]
	v_fma_f64 v[120:121], v[120:121], v[24:25], -v[170:171]
	v_fma_f64 v[1:2], v[148:149], v[100:101], -v[1:2]
	v_fma_f64 v[3:4], v[150:151], v[100:101], v[3:4]
	v_fma_f64 v[5:6], v[144:145], v[96:97], -v[5:6]
	v_fma_f64 v[7:8], v[146:147], v[96:97], v[7:8]
	;; [unrolled: 2-line block ×4, first 2 shown]
	v_mul_f64 v[140:141], v[118:119], v[42:43]
	v_mul_f64 v[142:143], v[116:117], v[42:43]
	;; [unrolled: 1-line block ×4, first 2 shown]
	v_fma_f64 v[122:123], v[122:123], v[24:25], v[172:173]
	v_fma_f64 v[126:127], v[164:165], v[32:33], -v[174:175]
	v_fma_f64 v[148:149], v[166:167], v[32:33], v[176:177]
	v_fma_f64 v[150:151], v[160:161], v[44:45], -v[178:179]
	v_fma_f64 v[152:153], v[162:163], v[44:45], v[180:181]
	v_fma_f64 v[136:137], v[136:137], v[108:109], -v[182:183]
	v_fma_f64 v[138:139], v[138:139], v[108:109], v[184:185]
	v_fma_f64 v[132:133], v[132:133], v[104:105], -v[186:187]
	v_fma_f64 v[134:135], v[134:135], v[104:105], v[188:189]
	v_add_f64 v[154:155], v[1:2], v[9:10]
	v_add_f64 v[160:161], v[3:4], v[11:12]
	;; [unrolled: 1-line block ×4, first 2 shown]
	v_fma_f64 v[116:117], v[116:117], v[40:41], -v[140:141]
	v_fma_f64 v[118:119], v[118:119], v[40:41], v[142:143]
	v_fma_f64 v[140:141], v[156:157], v[36:37], -v[144:145]
	v_fma_f64 v[142:143], v[158:159], v[36:37], v[146:147]
	v_add_f64 v[5:6], v[5:6], -v[13:14]
	v_add_f64 v[144:145], v[22:23], v[126:127]
	v_add_f64 v[146:147], v[124:125], v[148:149]
	;; [unrolled: 1-line block ×4, first 2 shown]
	v_add_f64 v[7:8], v[7:8], -v[15:16]
	v_add_f64 v[9:10], v[1:2], -v[9:10]
	v_add_f64 v[166:167], v[136:137], v[132:133]
	v_add_f64 v[168:169], v[138:139], v[134:135]
	v_add_f64 v[13:14], v[132:133], -v[136:137]
	v_add_f64 v[15:16], v[134:135], -v[138:139]
	;; [unrolled: 1-line block ×7, first 2 shown]
	v_add_f64 v[1:2], v[162:163], v[154:155]
	v_add_f64 v[3:4], v[164:165], v[160:161]
	v_add_f64 v[132:133], v[116:117], v[140:141]
	v_add_f64 v[134:135], v[118:119], v[142:143]
	v_add_f64 v[116:117], v[140:141], -v[116:117]
	v_add_f64 v[118:119], v[142:143], -v[118:119]
	v_add_f64 v[126:127], v[156:157], v[144:145]
	v_add_f64 v[136:137], v[158:159], v[146:147]
	v_add_f64 v[170:171], v[5:6], -v[9:10]
	v_add_f64 v[138:139], v[154:155], -v[166:167]
	;; [unrolled: 1-line block ×12, first 2 shown]
	v_add_f64 v[5:6], v[13:14], v[5:6]
	v_add_f64 v[7:8], v[15:16], v[7:8]
	v_add_f64 v[13:14], v[9:10], -v[13:14]
	v_add_f64 v[15:16], v[11:12], -v[15:16]
	v_add_f64 v[166:167], v[166:167], v[1:2]
	v_add_f64 v[168:169], v[168:169], v[3:4]
	v_add_f64 v[174:175], v[144:145], -v[132:133]
	v_add_f64 v[176:177], v[146:147], -v[134:135]
	v_add_f64 v[178:179], v[116:117], -v[120:121]
	v_add_f64 v[180:181], v[118:119], -v[122:123]
	v_add_f64 v[120:121], v[116:117], v[120:121]
	v_add_f64 v[126:127], v[132:133], v[126:127]
	;; [unrolled: 1-line block ×3, first 2 shown]
	v_add_f64 v[132:133], v[132:133], -v[156:157]
	v_add_f64 v[134:135], v[134:135], -v[158:159]
	v_add_f64 v[122:123], v[118:119], v[122:123]
	v_mul_f64 v[138:139], v[138:139], s[10:11]
	v_mul_f64 v[140:141], v[140:141], s[10:11]
	;; [unrolled: 1-line block ×8, first 2 shown]
	v_add_f64 v[116:117], v[22:23], -v[116:117]
	v_add_f64 v[118:119], v[124:125], -v[118:119]
	;; [unrolled: 1-line block ×4, first 2 shown]
	v_add_f64 v[5:6], v[5:6], v[9:10]
	v_add_f64 v[7:8], v[7:8], v[11:12]
	;; [unrolled: 1-line block ×4, first 2 shown]
	v_mul_f64 v[128:129], v[174:175], s[10:11]
	v_mul_f64 v[130:131], v[176:177], s[10:11]
	;; [unrolled: 1-line block ×6, first 2 shown]
	v_add_f64 v[112:113], v[112:113], v[126:127]
	v_add_f64 v[114:115], v[114:115], v[136:137]
	v_mul_f64 v[156:157], v[132:133], s[12:13]
	v_mul_f64 v[158:159], v[134:135], s[12:13]
	s_mov_b32 s10, 0x5476071b
	s_mov_b32 s11, 0x3fe77f67
	;; [unrolled: 1-line block ×4, first 2 shown]
	v_add_f64 v[9:10], v[120:121], v[22:23]
	v_add_f64 v[11:12], v[122:123], v[124:125]
	v_fma_f64 v[22:23], v[142:143], s[12:13], v[138:139]
	v_fma_f64 v[120:121], v[148:149], s[12:13], v[140:141]
	v_fma_f64 v[122:123], v[154:155], s[10:11], -v[162:163]
	v_fma_f64 v[124:125], v[160:161], s[10:11], -v[164:165]
	v_fma_f64 v[142:143], v[13:14], s[20:21], v[150:151]
	v_fma_f64 v[148:149], v[15:16], s[20:21], v[152:153]
	v_fma_f64 v[150:151], v[170:171], s[16:17], -v[150:151]
	v_fma_f64 v[152:153], v[172:173], s[16:17], -v[152:153]
	;; [unrolled: 1-line block ×6, first 2 shown]
	v_fma_f64 v[162:163], v[166:167], s[18:19], v[1:2]
	v_fma_f64 v[164:165], v[168:169], s[18:19], v[3:4]
	;; [unrolled: 1-line block ×6, first 2 shown]
	v_fma_f64 v[166:167], v[182:183], s[16:17], -v[174:175]
	v_fma_f64 v[168:169], v[184:185], s[16:17], -v[176:177]
	;; [unrolled: 1-line block ×4, first 2 shown]
	v_fma_f64 v[126:127], v[126:127], s[18:19], v[112:113]
	v_fma_f64 v[136:137], v[136:137], s[18:19], v[114:115]
	v_fma_f64 v[128:129], v[144:145], s[14:15], -v[128:129]
	v_fma_f64 v[130:131], v[146:147], s[14:15], -v[130:131]
	v_fma_f64 v[144:145], v[144:145], s[10:11], -v[156:157]
	v_fma_f64 v[146:147], v[146:147], s[10:11], -v[158:159]
	s_mov_b32 s10, 0x37c3f68c
	s_mov_b32 s11, 0x3fdc38aa
	s_delay_alu instid0(SALU_CYCLE_1)
	v_fma_f64 v[142:143], v[5:6], s[10:11], v[142:143]
	v_fma_f64 v[148:149], v[7:8], s[10:11], v[148:149]
	;; [unrolled: 1-line block ×6, first 2 shown]
	v_add_f64 v[22:23], v[22:23], v[162:163]
	v_add_f64 v[170:171], v[120:121], v[164:165]
	;; [unrolled: 1-line block ×6, first 2 shown]
	v_fma_f64 v[164:165], v[9:10], s[10:11], v[154:155]
	v_fma_f64 v[172:173], v[11:12], s[10:11], v[160:161]
	;; [unrolled: 1-line block ×6, first 2 shown]
	v_add_f64 v[132:133], v[132:133], v[126:127]
	v_add_f64 v[134:135], v[134:135], v[136:137]
	;; [unrolled: 1-line block ×7, first 2 shown]
	v_add_f64 v[7:8], v[170:171], -v[142:143]
	v_add_f64 v[9:10], v[158:159], v[120:121]
	v_add_f64 v[11:12], v[138:139], -v[156:157]
	v_add_f64 v[13:14], v[122:123], -v[152:153]
	v_add_f64 v[15:16], v[150:151], v[124:125]
	v_add_f64 v[116:117], v[152:153], v[122:123]
	v_add_f64 v[118:119], v[124:125], -v[150:151]
	v_add_f64 v[120:121], v[120:121], -v[158:159]
	v_add_f64 v[122:123], v[156:157], v[138:139]
	v_add_f64 v[124:125], v[22:23], -v[148:149]
	v_add_f64 v[126:127], v[142:143], v[170:171]
	v_add_f64 v[160:161], v[172:173], v[132:133]
	v_add_f64 v[162:163], v[134:135], -v[164:165]
	v_add_f64 v[152:153], v[174:175], v[128:129]
	v_add_f64 v[154:155], v[130:131], -v[168:169]
	v_add_f64 v[156:157], v[144:145], -v[140:141]
	v_add_f64 v[158:159], v[166:167], v[136:137]
	v_add_f64 v[140:141], v[140:141], v[144:145]
	v_add_f64 v[142:143], v[136:137], -v[166:167]
	v_add_f64 v[144:145], v[128:129], -v[174:175]
	v_add_f64 v[146:147], v[168:169], v[130:131]
	v_add_f64 v[148:149], v[132:133], -v[172:173]
	v_add_f64 v[150:151], v[164:165], v[134:135]
	ds_store_b128 v196, v[1:4]
	ds_store_b128 v196, v[5:8] offset:528
	scratch_store_b32 off, v0, off offset:132 ; 4-byte Folded Spill
	ds_store_b128 v196, v[9:12] offset:1056
	ds_store_b128 v196, v[13:16] offset:1584
	;; [unrolled: 1-line block ×5, first 2 shown]
	s_and_saveexec_b32 s10, s1
	s_cbranch_execz .LBB0_15
; %bb.14:
	scratch_load_b32 v0, off, off offset:132 ; 4-byte Folded Reload
	s_waitcnt vmcnt(0)
	v_lshlrev_b32_e32 v0, 4, v0
	ds_store_b128 v0, v[112:115] offset:25872
	ds_store_b128 v0, v[160:163] offset:26400
	;; [unrolled: 1-line block ×7, first 2 shown]
.LBB0_15:
	s_or_b32 exec_lo, exec_lo, s10
	v_lshlrev_b32_e32 v23, 4, v21
	s_waitcnt lgkmcnt(0)
	s_waitcnt_vscnt null, 0x0
	s_barrier
	buffer_gl0_inv
	s_clause 0x2
	global_load_b128 v[120:123], v23, s[2:3] offset:3648
	global_load_b128 v[116:119], v23, s[2:3] offset:3664
	;; [unrolled: 1-line block ×3, first 2 shown]
	ds_load_b128 v[0:3], v255 offset:7392
	ds_load_b128 v[4:7], v255 offset:14784
	;; [unrolled: 1-line block ×6, first 2 shown]
	s_waitcnt vmcnt(2) lgkmcnt(5)
	v_mul_f64 v[16:17], v[2:3], v[122:123]
	s_waitcnt vmcnt(1) lgkmcnt(4)
	v_mul_f64 v[132:133], v[6:7], v[118:119]
	;; [unrolled: 2-line block ×3, first 2 shown]
	v_mul_f64 v[21:22], v[0:1], v[122:123]
	v_mul_f64 v[134:135], v[4:5], v[118:119]
	v_mul_f64 v[138:139], v[8:9], v[114:115]
	s_waitcnt lgkmcnt(2)
	v_mul_f64 v[166:167], v[12:13], v[122:123]
	s_waitcnt lgkmcnt(1)
	v_mul_f64 v[170:171], v[124:125], v[118:119]
	;; [unrolled: 2-line block ×3, first 2 shown]
	v_mul_f64 v[164:165], v[14:15], v[122:123]
	v_mul_f64 v[168:169], v[126:127], v[118:119]
	;; [unrolled: 1-line block ×3, first 2 shown]
	v_fma_f64 v[16:17], v[0:1], v[120:121], -v[16:17]
	v_fma_f64 v[132:133], v[4:5], v[116:117], -v[132:133]
	;; [unrolled: 1-line block ×3, first 2 shown]
	v_fma_f64 v[21:22], v[2:3], v[120:121], v[21:22]
	v_fma_f64 v[134:135], v[6:7], v[116:117], v[134:135]
	ds_load_b128 v[0:3], v255
	ds_load_b128 v[4:7], v255 offset:3696
	v_fma_f64 v[14:15], v[14:15], v[120:121], v[166:167]
	v_fma_f64 v[126:127], v[126:127], v[116:117], v[170:171]
	;; [unrolled: 1-line block ×3, first 2 shown]
	v_fma_f64 v[12:13], v[12:13], v[120:121], -v[164:165]
	v_fma_f64 v[10:11], v[10:11], v[112:113], v[138:139]
	v_fma_f64 v[124:125], v[124:125], v[116:117], -v[168:169]
	v_fma_f64 v[128:129], v[128:129], v[112:113], -v[172:173]
	s_waitcnt lgkmcnt(1)
	v_add_f64 v[132:133], v[0:1], -v[132:133]
	v_add_f64 v[8:9], v[16:17], -v[8:9]
	;; [unrolled: 1-line block ×3, first 2 shown]
	s_waitcnt lgkmcnt(0)
	v_add_f64 v[164:165], v[6:7], -v[126:127]
	v_add_f64 v[126:127], v[14:15], -v[130:131]
	;; [unrolled: 1-line block ×5, first 2 shown]
	v_fma_f64 v[130:131], v[0:1], 2.0, -v[132:133]
	v_fma_f64 v[16:17], v[16:17], 2.0, -v[8:9]
	;; [unrolled: 1-line block ×3, first 2 shown]
	v_add_f64 v[2:3], v[134:135], v[8:9]
	v_fma_f64 v[168:169], v[6:7], 2.0, -v[164:165]
	v_fma_f64 v[14:15], v[14:15], 2.0, -v[126:127]
	v_fma_f64 v[21:22], v[21:22], 2.0, -v[10:11]
	v_fma_f64 v[166:167], v[4:5], 2.0, -v[136:137]
	v_fma_f64 v[6:7], v[12:13], 2.0, -v[124:125]
	v_add_f64 v[0:1], v[132:133], -v[10:11]
	v_add_f64 v[4:5], v[136:137], -v[126:127]
	v_add_f64 v[8:9], v[130:131], -v[16:17]
	scratch_load_b32 v16, off, off          ; 4-byte Folded Reload
	v_add_co_u32 v17, s2, s2, v23
	v_fma_f64 v[126:127], v[134:135], 2.0, -v[2:3]
	s_waitcnt vmcnt(0)
	v_add_f64 v[14:15], v[168:169], -v[14:15]
	s_barrier
	v_add_f64 v[10:11], v[138:139], -v[21:22]
	v_add_co_ci_u32_e64 v21, null, s3, 0, s2
	v_add_f64 v[12:13], v[166:167], -v[6:7]
	v_add_f64 v[6:7], v[164:165], v[124:125]
	v_fma_f64 v[124:125], v[132:133], 2.0, -v[0:1]
	v_fma_f64 v[128:129], v[136:137], 2.0, -v[4:5]
	buffer_gl0_inv
	v_fma_f64 v[132:133], v[130:131], 2.0, -v[8:9]
	v_fma_f64 v[134:135], v[138:139], 2.0, -v[10:11]
	;; [unrolled: 1-line block ×5, first 2 shown]
	ds_store_b128 v255, v[8:11] offset:7392
	ds_store_b128 v255, v[0:3] offset:11088
	;; [unrolled: 1-line block ×4, first 2 shown]
	ds_store_b128 v255, v[132:135]
	ds_store_b128 v255, v[124:127] offset:3696
	ds_store_b128 v255, v[136:139] offset:14784
	;; [unrolled: 1-line block ×3, first 2 shown]
	s_waitcnt lgkmcnt(0)
	s_barrier
	buffer_gl0_inv
	v_lshlrev_b32_e32 v16, 5, v16
	s_delay_alu instid0(VALU_DEP_1) | instskip(NEXT) | instid1(VALU_DEP_1)
	v_sub_co_u32 v23, s2, v17, v16
	v_subrev_co_ci_u32_e64 v166, s2, 0, v21, s2
	s_delay_alu instid0(VALU_DEP_2) | instskip(NEXT) | instid1(VALU_DEP_1)
	v_add_co_u32 v16, s2, 0x3000, v23
	v_add_co_ci_u32_e64 v17, s2, 0, v166, s2
	v_add_co_u32 v21, s2, 0x4000, v23
	s_delay_alu instid0(VALU_DEP_1) | instskip(SKIP_1) | instid1(VALU_DEP_1)
	v_add_co_ci_u32_e64 v22, s2, 0, v166, s2
	v_add_co_u32 v164, s2, 0x5000, v23
	v_add_co_ci_u32_e64 v165, s2, 0, v166, s2
	v_add_co_u32 v0, s2, 0x6000, v23
	s_delay_alu instid0(VALU_DEP_1)
	v_add_co_ci_u32_e64 v1, s2, 0, v166, s2
	s_clause 0x3
	global_load_b128 v[124:127], v[16:17], off offset:2448
	global_load_b128 v[132:135], v[21:22], off offset:2048
	;; [unrolled: 1-line block ×4, first 2 shown]
	ds_load_b128 v[0:3], v255 offset:14784
	ds_load_b128 v[4:7], v255 offset:18480
	;; [unrolled: 1-line block ×4, first 2 shown]
	s_waitcnt vmcnt(2) lgkmcnt(2)
	v_mul_f64 v[166:167], v[4:5], v[134:135]
	v_mul_f64 v[16:17], v[2:3], v[126:127]
	s_waitcnt vmcnt(0) lgkmcnt(0)
	v_mul_f64 v[174:175], v[12:13], v[138:139]
	v_mul_f64 v[21:22], v[0:1], v[126:127]
	;; [unrolled: 1-line block ×6, first 2 shown]
	v_fma_f64 v[166:167], v[6:7], v[132:133], v[166:167]
	v_fma_f64 v[16:17], v[0:1], v[124:125], -v[16:17]
	v_fma_f64 v[186:187], v[14:15], v[136:137], v[174:175]
	v_fma_f64 v[21:22], v[2:3], v[124:125], v[21:22]
	v_fma_f64 v[164:165], v[4:5], v[132:133], -v[164:165]
	v_fma_f64 v[168:169], v[8:9], v[128:129], -v[168:169]
	v_fma_f64 v[170:171], v[10:11], v[128:129], v[170:171]
	v_fma_f64 v[184:185], v[12:13], v[136:137], -v[172:173]
	ds_load_b128 v[0:3], v255
	ds_load_b128 v[4:7], v255 offset:3696
	ds_load_b128 v[8:11], v255 offset:7392
	;; [unrolled: 1-line block ×3, first 2 shown]
	s_waitcnt lgkmcnt(2)
	v_add_f64 v[178:179], v[6:7], -v[166:167]
	v_add_f64 v[172:173], v[0:1], -v[16:17]
	s_waitcnt lgkmcnt(0)
	v_add_f64 v[166:167], v[14:15], -v[186:187]
	v_add_f64 v[174:175], v[2:3], -v[21:22]
	;; [unrolled: 1-line block ×6, first 2 shown]
	v_fma_f64 v[184:185], v[0:1], 2.0, -v[172:173]
	v_fma_f64 v[170:171], v[14:15], 2.0, -v[166:167]
	s_clause 0x1
	scratch_load_b32 v14, off, off offset:4
	scratch_load_b32 v15, off, off offset:8
	v_fma_f64 v[186:187], v[2:3], 2.0, -v[174:175]
	v_fma_f64 v[2:3], v[4:5], 2.0, -v[176:177]
	;; [unrolled: 1-line block ×6, first 2 shown]
	ds_store_b128 v255, v[172:175] offset:14784
	ds_store_b128 v255, v[176:179] offset:18480
	;; [unrolled: 1-line block ×4, first 2 shown]
	ds_store_b128 v255, v[184:187]
	ds_store_b128 v255, v[2:5] offset:3696
	ds_store_b128 v255, v[6:9] offset:7392
	;; [unrolled: 1-line block ×3, first 2 shown]
	s_waitcnt vmcnt(0) lgkmcnt(0)
	s_barrier
	buffer_gl0_inv
	v_add_co_u32 v0, s2, 0x7380, v14
	s_delay_alu instid0(VALU_DEP_1) | instskip(SKIP_1) | instid1(VALU_DEP_1)
	v_add_co_ci_u32_e64 v1, s2, 0, v15, s2
	v_add_co_u32 v10, s2, 0x7000, v14
	v_add_co_ci_u32_e64 v11, s2, 0, v15, s2
	v_add_co_u32 v12, s2, 0x9000, v14
	s_delay_alu instid0(VALU_DEP_1) | instskip(SKIP_1) | instid1(VALU_DEP_1)
	v_add_co_ci_u32_e64 v13, s2, 0, v15, s2
	v_add_co_u32 v21, s2, 0xc000, v14
	v_add_co_ci_u32_e64 v22, s2, 0, v15, s2
	v_add_co_u32 v172, s2, 0xa000, v14
	s_delay_alu instid0(VALU_DEP_1)
	v_add_co_ci_u32_e64 v173, s2, 0, v15, s2
	s_clause 0x5
	global_load_b128 v[2:5], v[10:11], off offset:896
	global_load_b128 v[6:9], v[12:13], off offset:2560
	;; [unrolled: 1-line block ×6, first 2 shown]
	ds_load_b128 v[180:183], v255
	ds_load_b128 v[184:187], v255 offset:9856
	ds_load_b128 v[188:191], v255 offset:19712
	;; [unrolled: 1-line block ×5, first 2 shown]
	s_waitcnt vmcnt(3) lgkmcnt(3)
	v_mul_f64 v[207:208], v[190:191], v[12:13]
	v_mul_f64 v[21:22], v[182:183], v[4:5]
	v_mul_f64 v[4:5], v[180:181], v[4:5]
	v_mul_f64 v[205:206], v[186:187], v[8:9]
	v_mul_f64 v[8:9], v[184:185], v[8:9]
	v_mul_f64 v[12:13], v[188:189], v[12:13]
	s_waitcnt vmcnt(2) lgkmcnt(2)
	v_mul_f64 v[209:210], v[194:195], v[16:17]
	v_mul_f64 v[16:17], v[192:193], v[16:17]
	s_waitcnt vmcnt(1) lgkmcnt(1)
	v_mul_f64 v[211:212], v[199:200], v[174:175]
	v_mul_f64 v[174:175], v[197:198], v[174:175]
	;; [unrolled: 3-line block ×3, first 2 shown]
	v_fma_f64 v[178:179], v[180:181], v[2:3], -v[21:22]
	v_fma_f64 v[180:181], v[182:183], v[2:3], v[4:5]
	v_fma_f64 v[2:3], v[184:185], v[6:7], -v[205:206]
	v_fma_f64 v[4:5], v[186:187], v[6:7], v[8:9]
	;; [unrolled: 2-line block ×6, first 2 shown]
	ds_store_b128 v255, v[178:181]
	ds_store_b128 v255, v[10:13] offset:3696
	ds_store_b128 v255, v[2:5] offset:9856
	;; [unrolled: 1-line block ×5, first 2 shown]
	s_and_saveexec_b32 s3, vcc_lo
	s_cbranch_execz .LBB0_17
; %bb.16:
	v_add_co_u32 v2, s2, 0x1000, v0
	s_delay_alu instid0(VALU_DEP_1) | instskip(SKIP_1) | instid1(VALU_DEP_1)
	v_add_co_ci_u32_e64 v3, s2, 0, v1, s2
	v_add_co_u32 v4, s2, 0x4000, v0
	v_add_co_ci_u32_e64 v5, s2, 0, v1, s2
	v_add_co_u32 v8, s2, 0x6000, v0
	s_delay_alu instid0(VALU_DEP_1)
	v_add_co_ci_u32_e64 v9, s2, 0, v1, s2
	s_clause 0x2
	global_load_b128 v[0:3], v[2:3], off offset:3296
	global_load_b128 v[4:7], v[4:5], off offset:864
	;; [unrolled: 1-line block ×3, first 2 shown]
	ds_load_b128 v[12:15], v255 offset:7392
	ds_load_b128 v[172:175], v255 offset:17248
	;; [unrolled: 1-line block ×3, first 2 shown]
	s_waitcnt vmcnt(2) lgkmcnt(2)
	v_mul_f64 v[16:17], v[14:15], v[2:3]
	v_mul_f64 v[2:3], v[12:13], v[2:3]
	s_waitcnt vmcnt(1) lgkmcnt(1)
	v_mul_f64 v[21:22], v[174:175], v[6:7]
	v_mul_f64 v[6:7], v[172:173], v[6:7]
	;; [unrolled: 3-line block ×3, first 2 shown]
	v_fma_f64 v[10:11], v[12:13], v[0:1], -v[16:17]
	v_fma_f64 v[12:13], v[14:15], v[0:1], v[2:3]
	v_fma_f64 v[0:1], v[172:173], v[4:5], -v[21:22]
	v_fma_f64 v[2:3], v[174:175], v[4:5], v[6:7]
	;; [unrolled: 2-line block ×3, first 2 shown]
	ds_store_b128 v255, v[10:13] offset:7392
	ds_store_b128 v255, v[0:3] offset:17248
	ds_store_b128 v255, v[4:7] offset:27104
.LBB0_17:
	s_or_b32 exec_lo, exec_lo, s3
	s_waitcnt lgkmcnt(0)
	s_barrier
	buffer_gl0_inv
	ds_load_b128 v[184:187], v255
	ds_load_b128 v[180:183], v255 offset:3696
	ds_load_b128 v[192:195], v255 offset:9856
	ds_load_b128 v[188:191], v255 offset:13552
	ds_load_b128 v[176:179], v255 offset:19712
	ds_load_b128 v[172:175], v255 offset:23408
	s_and_saveexec_b32 s2, vcc_lo
	s_cbranch_execz .LBB0_19
; %bb.18:
	ds_load_b128 v[168:171], v255 offset:7392
	ds_load_b128 v[164:167], v255 offset:17248
	;; [unrolled: 1-line block ×3, first 2 shown]
.LBB0_19:
	s_or_b32 exec_lo, exec_lo, s2
	s_waitcnt lgkmcnt(1)
	v_add_f64 v[0:1], v[192:193], v[176:177]
	v_add_f64 v[2:3], v[194:195], v[178:179]
	s_waitcnt lgkmcnt(0)
	v_add_f64 v[4:5], v[188:189], v[172:173]
	v_add_f64 v[6:7], v[190:191], v[174:175]
	;; [unrolled: 1-line block ×5, first 2 shown]
	v_add_f64 v[14:15], v[194:195], -v[178:179]
	v_add_f64 v[16:17], v[186:187], v[194:195]
	v_add_f64 v[21:22], v[180:181], v[188:189]
	;; [unrolled: 1-line block ×5, first 2 shown]
	v_add_f64 v[201:202], v[192:193], -v[176:177]
	v_add_f64 v[190:191], v[190:191], -v[174:175]
	;; [unrolled: 1-line block ×5, first 2 shown]
	s_mov_b32 s2, 0xe8584caa
	s_mov_b32 s3, 0xbfebb67a
	;; [unrolled: 1-line block ×4, first 2 shown]
	s_barrier
	buffer_gl0_inv
	v_fma_f64 v[0:1], v[0:1], -0.5, v[184:185]
	v_fma_f64 v[2:3], v[2:3], -0.5, v[186:187]
	;; [unrolled: 1-line block ×6, first 2 shown]
	v_add_f64 v[164:165], v[12:13], v[176:177]
	v_add_f64 v[166:167], v[16:17], v[178:179]
	;; [unrolled: 1-line block ×6, first 2 shown]
	v_fma_f64 v[192:193], v[14:15], s[2:3], v[0:1]
	v_fma_f64 v[184:185], v[14:15], s[10:11], v[0:1]
	;; [unrolled: 1-line block ×12, first 2 shown]
	ds_store_b128 v20, v[164:167]
	ds_store_b128 v20, v[192:195] offset:16
	ds_store_b128 v20, v[184:187] offset:32
	ds_store_b128 v18, v[180:183]
	ds_store_b128 v18, v[172:175] offset:16
	ds_store_b128 v18, v[168:171] offset:32
	s_and_saveexec_b32 s2, vcc_lo
	s_cbranch_execz .LBB0_21
; %bb.20:
	v_lshlrev_b32_e32 v0, 4, v19
	ds_store_b128 v0, v[160:163]
	ds_store_b128 v0, v[176:179] offset:16
	ds_store_b128 v0, v[188:191] offset:32
.LBB0_21:
	s_or_b32 exec_lo, exec_lo, s2
	s_waitcnt lgkmcnt(0)
	s_barrier
	buffer_gl0_inv
	s_and_saveexec_b32 s2, s0
	s_cbranch_execz .LBB0_23
; %bb.22:
	ds_load_b128 v[164:167], v255
	ds_load_b128 v[192:195], v255 offset:2688
	ds_load_b128 v[184:187], v255 offset:5376
	;; [unrolled: 1-line block ×10, first 2 shown]
.LBB0_23:
	s_or_b32 exec_lo, exec_lo, s2
	s_waitcnt lgkmcnt(9)
	v_mul_f64 v[0:1], v[54:55], v[192:193]
	s_mov_b32 s14, 0xf8bb580b
	s_mov_b32 s15, 0xbfe14ced
	;; [unrolled: 1-line block ×28, first 2 shown]
	s_delay_alu instid0(VALU_DEP_1) | instskip(SKIP_1) | instid1(VALU_DEP_1)
	v_fma_f64 v[2:3], v[52:53], v[194:195], -v[0:1]
	v_mul_f64 v[0:1], v[54:55], v[194:195]
	v_fma_f64 v[194:195], v[52:53], v[192:193], v[0:1]
	s_waitcnt lgkmcnt(0)
	v_mul_f64 v[0:1], v[86:87], v[156:157]
	s_delay_alu instid0(VALU_DEP_1) | instskip(SKIP_1) | instid1(VALU_DEP_1)
	v_fma_f64 v[4:5], v[84:85], v[158:159], -v[0:1]
	v_mul_f64 v[0:1], v[86:87], v[158:159]
	v_fma_f64 v[6:7], v[84:85], v[156:157], v[0:1]
	v_mul_f64 v[0:1], v[78:79], v[184:185]
	s_clause 0x1
	scratch_store_b64 off, v[4:5], off offset:136
	scratch_store_b64 off, v[6:7], off offset:144
	v_fma_f64 v[8:9], v[76:77], v[186:187], -v[0:1]
	v_mul_f64 v[0:1], v[78:79], v[186:187]
	v_add_f64 v[237:238], v[6:7], v[194:195]
	v_add_f64 v[22:23], v[194:195], -v[6:7]
	s_delay_alu instid0(VALU_DEP_3) | instskip(SKIP_1) | instid1(VALU_DEP_1)
	v_fma_f64 v[14:15], v[76:77], v[184:185], v[0:1]
	v_mul_f64 v[0:1], v[82:83], v[152:153]
	v_fma_f64 v[10:11], v[80:81], v[154:155], -v[0:1]
	v_mul_f64 v[0:1], v[82:83], v[154:155]
	s_clause 0x1
	scratch_store_b64 off, v[8:9], off offset:152
	scratch_store_b64 off, v[10:11], off offset:160
	v_add_f64 v[215:216], v[8:9], -v[10:11]
	v_fma_f64 v[12:13], v[80:81], v[152:153], v[0:1]
	v_mul_f64 v[0:1], v[62:63], v[180:181]
	s_clause 0x1
	scratch_store_b64 off, v[12:13], off offset:168
	scratch_store_b64 off, v[14:15], off offset:176
	v_fma_f64 v[16:17], v[60:61], v[182:183], -v[0:1]
	v_mul_f64 v[0:1], v[62:63], v[182:183]
	v_mul_f64 v[221:222], v[215:216], s[22:23]
	;; [unrolled: 1-line block ×4, first 2 shown]
	s_delay_alu instid0(VALU_DEP_4) | instskip(SKIP_1) | instid1(VALU_DEP_1)
	v_fma_f64 v[152:153], v[60:61], v[180:181], v[0:1]
	v_mul_f64 v[0:1], v[74:75], v[188:189]
	v_fma_f64 v[82:83], v[72:73], v[190:191], -v[0:1]
	v_mul_f64 v[0:1], v[74:75], v[190:191]
	s_delay_alu instid0(VALU_DEP_2) | instskip(NEXT) | instid1(VALU_DEP_2)
	v_add_f64 v[217:218], v[16:17], -v[82:83]
	v_fma_f64 v[72:73], v[72:73], v[188:189], v[0:1]
	v_mul_f64 v[0:1], v[50:51], v[172:173]
	v_add_f64 v[188:189], v[16:17], v[82:83]
	s_delay_alu instid0(VALU_DEP_4) | instskip(NEXT) | instid1(VALU_DEP_4)
	v_mul_f64 v[182:183], v[217:218], s[18:19]
	v_add_f64 v[180:181], v[152:153], -v[72:73]
	s_delay_alu instid0(VALU_DEP_4)
	v_fma_f64 v[74:75], v[48:49], v[174:175], -v[0:1]
	v_mul_f64 v[0:1], v[50:51], v[174:175]
	v_add_f64 v[174:175], v[152:153], v[72:73]
	v_mul_f64 v[186:187], v[188:189], s[16:17]
	v_mul_f64 v[225:226], v[217:218], s[28:29]
	;; [unrolled: 1-line block ×4, first 2 shown]
	v_fma_f64 v[158:159], v[48:49], v[172:173], v[0:1]
	v_mul_f64 v[0:1], v[66:67], v[176:177]
	v_mul_f64 v[172:173], v[215:216], s[10:11]
	s_delay_alu instid0(VALU_DEP_2) | instskip(SKIP_2) | instid1(VALU_DEP_3)
	v_fma_f64 v[154:155], v[64:65], v[178:179], -v[0:1]
	v_mul_f64 v[0:1], v[66:67], v[178:179]
	v_add_f64 v[178:179], v[10:11], v[8:9]
	v_add_f64 v[219:220], v[74:75], -v[154:155]
	s_delay_alu instid0(VALU_DEP_3) | instskip(SKIP_1) | instid1(VALU_DEP_4)
	v_fma_f64 v[64:65], v[64:65], v[176:177], v[0:1]
	v_mul_f64 v[0:1], v[58:59], v[168:169]
	v_mul_f64 v[176:177], v[178:179], s[2:3]
	v_add_f64 v[211:212], v[74:75], v[154:155]
	v_mul_f64 v[231:232], v[178:179], s[20:21]
	v_mul_f64 v[249:250], v[178:179], s[24:25]
	;; [unrolled: 1-line block ×3, first 2 shown]
	v_add_f64 v[184:185], v[158:159], v[64:65]
	v_fma_f64 v[66:67], v[56:57], v[170:171], -v[0:1]
	v_mul_f64 v[0:1], v[58:59], v[170:171]
	v_add_f64 v[203:204], v[158:159], -v[64:65]
	v_mul_f64 v[209:210], v[211:212], s[20:21]
	v_mul_f64 v[233:234], v[219:220], s[30:31]
	v_mul_f64 v[245:246], v[211:212], s[16:17]
	v_mul_f64 v[253:254], v[219:220], s[14:15]
	v_fma_f64 v[199:200], v[56:57], v[168:169], v[0:1]
	v_dual_mov_b32 v169, v3 :: v_dual_mov_b32 v168, v2
	v_mul_f64 v[0:1], v[70:71], v[160:161]
	s_delay_alu instid0(VALU_DEP_2) | instskip(SKIP_1) | instid1(VALU_DEP_3)
	v_add_f64 v[241:242], v[168:169], -v[4:5]
	v_add_f64 v[192:193], v[4:5], v[168:169]
	v_fma_f64 v[170:171], v[68:69], v[162:163], -v[0:1]
	v_mul_f64 v[0:1], v[70:71], v[162:163]
	v_add_f64 v[70:71], v[12:13], v[14:15]
	v_add_f64 v[162:163], v[14:15], -v[12:13]
	v_mul_f64 v[229:230], v[241:242], s[14:15]
	v_mul_f64 v[20:21], v[192:193], s[12:13]
	;; [unrolled: 1-line block ×8, first 2 shown]
	v_add_f64 v[223:224], v[66:67], -v[170:171]
	v_fma_f64 v[68:69], v[68:69], v[160:161], v[0:1]
	v_fma_f64 v[2:3], v[70:71], s[2:3], -v[172:173]
	v_fma_f64 v[4:5], v[162:163], s[10:11], v[176:177]
	v_fma_f64 v[0:1], v[237:238], s[12:13], -v[229:230]
	v_add_f64 v[213:214], v[170:171], v[66:67]
	v_mul_f64 v[160:161], v[192:193], s[2:3]
	v_fma_f64 v[10:11], v[162:163], s[30:31], v[12:13]
	v_mul_f64 v[205:206], v[223:224], s[26:27]
	v_add_f64 v[190:191], v[68:69], v[199:200]
	v_add_f64 v[207:208], v[199:200], -v[68:69]
	v_mul_f64 v[235:236], v[223:224], s[36:37]
	v_add_f64 v[0:1], v[164:165], v[0:1]
	v_mul_f64 v[197:198], v[213:214], s[12:13]
	v_mul_f64 v[247:248], v[223:224], s[22:23]
	s_delay_alu instid0(VALU_DEP_3) | instskip(SKIP_1) | instid1(VALU_DEP_1)
	v_add_f64 v[0:1], v[2:3], v[0:1]
	v_fma_f64 v[2:3], v[22:23], s[14:15], v[20:21]
	v_add_f64 v[2:3], v[166:167], v[2:3]
	s_delay_alu instid0(VALU_DEP_1) | instskip(SKIP_1) | instid1(VALU_DEP_1)
	v_add_f64 v[2:3], v[4:5], v[2:3]
	v_fma_f64 v[4:5], v[174:175], s[16:17], -v[182:183]
	v_add_f64 v[0:1], v[4:5], v[0:1]
	v_fma_f64 v[4:5], v[180:181], s[18:19], v[186:187]
	s_delay_alu instid0(VALU_DEP_1) | instskip(SKIP_1) | instid1(VALU_DEP_1)
	v_add_f64 v[2:3], v[4:5], v[2:3]
	v_fma_f64 v[4:5], v[184:185], s[20:21], -v[201:202]
	v_add_f64 v[0:1], v[4:5], v[0:1]
	v_fma_f64 v[4:5], v[203:204], s[22:23], v[209:210]
	s_delay_alu instid0(VALU_DEP_1) | instskip(SKIP_1) | instid1(VALU_DEP_1)
	v_add_f64 v[2:3], v[4:5], v[2:3]
	v_fma_f64 v[4:5], v[190:191], s[24:25], -v[205:206]
	v_add_f64 v[52:53], v[4:5], v[0:1]
	v_mul_f64 v[0:1], v[213:214], s[24:25]
	scratch_store_b64 off, v[16:17], off offset:184 ; 8-byte Folded Spill
	v_fma_f64 v[4:5], v[162:163], s[22:23], v[231:232]
	scratch_store_b64 off, v[0:1], off offset:192 ; 8-byte Folded Spill
	v_fma_f64 v[0:1], v[207:208], s[26:27], v[0:1]
	s_waitcnt_vscnt null, 0x0
	s_barrier
	buffer_gl0_inv
	v_add_f64 v[54:55], v[0:1], v[2:3]
	v_fma_f64 v[0:1], v[237:238], s[2:3], -v[84:85]
	v_fma_f64 v[2:3], v[70:71], s[20:21], -v[221:222]
	s_delay_alu instid0(VALU_DEP_2) | instskip(NEXT) | instid1(VALU_DEP_1)
	v_add_f64 v[0:1], v[164:165], v[0:1]
	v_add_f64 v[0:1], v[2:3], v[0:1]
	v_fma_f64 v[2:3], v[22:23], s[10:11], v[160:161]
	s_delay_alu instid0(VALU_DEP_1) | instskip(NEXT) | instid1(VALU_DEP_1)
	v_add_f64 v[2:3], v[166:167], v[2:3]
	v_add_f64 v[2:3], v[4:5], v[2:3]
	v_fma_f64 v[4:5], v[174:175], s[24:25], -v[225:226]
	s_delay_alu instid0(VALU_DEP_1) | instskip(SKIP_1) | instid1(VALU_DEP_1)
	v_add_f64 v[0:1], v[4:5], v[0:1]
	v_fma_f64 v[4:5], v[180:181], s[28:29], v[239:240]
	v_add_f64 v[2:3], v[4:5], v[2:3]
	v_fma_f64 v[4:5], v[184:185], s[16:17], -v[233:234]
	s_delay_alu instid0(VALU_DEP_1) | instskip(SKIP_1) | instid1(VALU_DEP_1)
	v_add_f64 v[0:1], v[4:5], v[0:1]
	v_fma_f64 v[4:5], v[203:204], s[30:31], v[245:246]
	v_add_f64 v[2:3], v[4:5], v[2:3]
	v_fma_f64 v[4:5], v[190:191], s[12:13], -v[235:236]
	s_delay_alu instid0(VALU_DEP_1) | instskip(SKIP_2) | instid1(VALU_DEP_2)
	v_add_f64 v[56:57], v[4:5], v[0:1]
	v_fma_f64 v[0:1], v[207:208], s[36:37], v[197:198]
	v_fma_f64 v[4:5], v[162:163], s[28:29], v[249:250]
	v_add_f64 v[58:59], v[0:1], v[2:3]
	v_fma_f64 v[0:1], v[237:238], s[16:17], -v[86:87]
	v_fma_f64 v[2:3], v[70:71], s[24:25], -v[227:228]
	s_delay_alu instid0(VALU_DEP_2) | instskip(NEXT) | instid1(VALU_DEP_1)
	v_add_f64 v[0:1], v[164:165], v[0:1]
	v_add_f64 v[0:1], v[2:3], v[0:1]
	v_fma_f64 v[2:3], v[22:23], s[18:19], v[76:77]
	s_delay_alu instid0(VALU_DEP_1) | instskip(NEXT) | instid1(VALU_DEP_1)
	v_add_f64 v[2:3], v[166:167], v[2:3]
	v_add_f64 v[2:3], v[4:5], v[2:3]
	v_fma_f64 v[4:5], v[174:175], s[2:3], -v[243:244]
	s_delay_alu instid0(VALU_DEP_1) | instskip(SKIP_1) | instid1(VALU_DEP_1)
	v_add_f64 v[4:5], v[4:5], v[0:1]
	v_mul_f64 v[0:1], v[188:189], s[2:3]
	v_fma_f64 v[6:7], v[180:181], s[34:35], v[0:1]
	s_delay_alu instid0(VALU_DEP_1) | instskip(SKIP_1) | instid1(VALU_DEP_1)
	v_add_f64 v[2:3], v[6:7], v[2:3]
	v_fma_f64 v[6:7], v[184:185], s[12:13], -v[253:254]
	v_add_f64 v[4:5], v[6:7], v[4:5]
	v_mul_f64 v[6:7], v[211:212], s[12:13]
	s_delay_alu instid0(VALU_DEP_1) | instskip(NEXT) | instid1(VALU_DEP_1)
	v_fma_f64 v[8:9], v[203:204], s[14:15], v[6:7]
	v_add_f64 v[2:3], v[8:9], v[2:3]
	v_fma_f64 v[8:9], v[190:191], s[20:21], -v[247:248]
	s_delay_alu instid0(VALU_DEP_1) | instskip(SKIP_1) | instid1(VALU_DEP_1)
	v_add_f64 v[60:61], v[8:9], v[4:5]
	v_mul_f64 v[8:9], v[213:214], s[20:21]
	v_fma_f64 v[4:5], v[207:208], s[22:23], v[8:9]
	s_delay_alu instid0(VALU_DEP_1) | instskip(SKIP_2) | instid1(VALU_DEP_2)
	v_add_f64 v[62:63], v[4:5], v[2:3]
	v_fma_f64 v[2:3], v[237:238], s[20:21], -v[78:79]
	v_fma_f64 v[4:5], v[70:71], s[16:17], -v[251:252]
	v_add_f64 v[2:3], v[164:165], v[2:3]
	s_delay_alu instid0(VALU_DEP_1) | instskip(SKIP_1) | instid1(VALU_DEP_1)
	v_add_f64 v[4:5], v[4:5], v[2:3]
	v_fma_f64 v[2:3], v[22:23], s[22:23], v[156:157]
	v_add_f64 v[2:3], v[166:167], v[2:3]
	s_delay_alu instid0(VALU_DEP_1) | instskip(SKIP_1) | instid1(VALU_DEP_1)
	v_add_f64 v[10:11], v[10:11], v[2:3]
	v_mul_f64 v[2:3], v[217:218], s[14:15]
	v_fma_f64 v[14:15], v[174:175], s[12:13], -v[2:3]
	s_delay_alu instid0(VALU_DEP_1) | instskip(SKIP_1) | instid1(VALU_DEP_1)
	v_add_f64 v[4:5], v[14:15], v[4:5]
	v_mul_f64 v[14:15], v[188:189], s[12:13]
	v_fma_f64 v[16:17], v[180:181], s[14:15], v[14:15]
	s_delay_alu instid0(VALU_DEP_1) | instskip(SKIP_1) | instid1(VALU_DEP_1)
	v_add_f64 v[18:19], v[16:17], v[10:11]
	v_mul_f64 v[10:11], v[219:220], s[26:27]
	v_fma_f64 v[16:17], v[184:185], s[24:25], -v[10:11]
	s_delay_alu instid0(VALU_DEP_1) | instskip(SKIP_1) | instid1(VALU_DEP_1)
	v_add_f64 v[48:49], v[16:17], v[4:5]
	v_mul_f64 v[16:17], v[211:212], s[24:25]
	v_fma_f64 v[4:5], v[203:204], s[26:27], v[16:17]
	;; [unrolled: 8-line block ×3, first 2 shown]
	s_delay_alu instid0(VALU_DEP_1)
	v_add_f64 v[50:51], v[80:81], v[50:51]
	s_and_saveexec_b32 s33, s0
	s_cbranch_execz .LBB0_25
; %bb.24:
	v_mul_f64 v[80:81], v[22:23], s[26:27]
	v_add_f64 v[168:169], v[166:167], v[168:169]
	scratch_store_b64 off, v[172:173], off offset:200 ; 8-byte Folded Spill
	v_add_f64 v[194:195], v[164:165], v[194:195]
	v_mul_f64 v[219:220], v[219:220], s[34:35]
	v_mul_f64 v[223:224], v[223:224], s[18:19]
	v_fma_f64 v[172:173], v[192:193], s[24:25], v[80:81]
	scratch_store_b64 off, v[168:169], off offset:208 ; 8-byte Folded Spill
	v_fma_f64 v[80:81], v[192:193], s[24:25], -v[80:81]
	v_mul_f64 v[192:193], v[22:23], s[22:23]
	v_dual_mov_b32 v169, v73 :: v_dual_mov_b32 v168, v72
	v_dual_mov_b32 v72, v82 :: v_dual_mov_b32 v73, v83
	;; [unrolled: 1-line block ×3, first 2 shown]
	v_mul_f64 v[176:177], v[207:208], s[18:19]
	v_add_f64 v[172:173], v[166:167], v[172:173]
	v_add_f64 v[80:81], v[166:167], v[80:81]
	v_add_f64 v[156:157], v[156:157], -v[192:193]
	v_mul_f64 v[192:193], v[22:23], s[18:19]
	s_delay_alu instid0(VALU_DEP_2) | instskip(NEXT) | instid1(VALU_DEP_2)
	v_add_f64 v[156:157], v[166:167], v[156:157]
	v_add_f64 v[76:77], v[76:77], -v[192:193]
	v_mul_f64 v[192:193], v[22:23], s[10:11]
	v_mul_f64 v[22:23], v[22:23], s[14:15]
	s_delay_alu instid0(VALU_DEP_2) | instskip(SKIP_1) | instid1(VALU_DEP_3)
	v_add_f64 v[160:161], v[160:161], -v[192:193]
	v_mul_f64 v[192:193], v[237:238], s[2:3]
	v_add_f64 v[20:21], v[20:21], -v[22:23]
	v_mul_f64 v[22:23], v[241:242], s[26:27]
	s_delay_alu instid0(VALU_DEP_3) | instskip(SKIP_1) | instid1(VALU_DEP_2)
	v_add_f64 v[84:85], v[192:193], v[84:85]
	v_mul_f64 v[192:193], v[237:238], s[16:17]
	v_add_f64 v[84:85], v[164:165], v[84:85]
	s_delay_alu instid0(VALU_DEP_2) | instskip(SKIP_1) | instid1(VALU_DEP_2)
	v_add_f64 v[86:87], v[192:193], v[86:87]
	v_mul_f64 v[192:193], v[237:238], s[20:21]
	v_add_f64 v[86:87], v[164:165], v[86:87]
	s_delay_alu instid0(VALU_DEP_2) | instskip(SKIP_3) | instid1(VALU_DEP_3)
	v_add_f64 v[78:79], v[192:193], v[78:79]
	v_fma_f64 v[192:193], v[237:238], s[24:25], -v[22:23]
	v_fma_f64 v[22:23], v[237:238], s[24:25], v[22:23]
	v_mul_f64 v[237:238], v[237:238], s[12:13]
	v_add_f64 v[192:193], v[164:165], v[192:193]
	s_delay_alu instid0(VALU_DEP_3) | instskip(NEXT) | instid1(VALU_DEP_3)
	v_add_f64 v[241:242], v[164:165], v[22:23]
	v_add_f64 v[229:230], v[237:238], v[229:230]
	;; [unrolled: 1-line block ×7, first 2 shown]
	v_mul_f64 v[229:230], v[162:163], s[36:37]
	s_delay_alu instid0(VALU_DEP_1) | instskip(NEXT) | instid1(VALU_DEP_1)
	v_fma_f64 v[20:21], v[178:179], s[12:13], v[229:230]
	v_add_f64 v[20:21], v[20:21], v[172:173]
	v_mul_f64 v[172:173], v[215:216], s[36:37]
	v_mul_f64 v[215:216], v[217:218], s[22:23]
	;; [unrolled: 1-line block ×3, first 2 shown]
	s_delay_alu instid0(VALU_DEP_3) | instskip(NEXT) | instid1(VALU_DEP_1)
	v_fma_f64 v[22:23], v[70:71], s[12:13], -v[172:173]
	v_add_f64 v[22:23], v[22:23], v[192:193]
	v_mul_f64 v[192:193], v[180:181], s[22:23]
	s_delay_alu instid0(VALU_DEP_1) | instskip(NEXT) | instid1(VALU_DEP_1)
	v_fma_f64 v[78:79], v[188:189], s[20:21], v[192:193]
	v_add_f64 v[20:21], v[78:79], v[20:21]
	v_fma_f64 v[78:79], v[174:175], s[20:21], -v[215:216]
	s_delay_alu instid0(VALU_DEP_1) | instskip(SKIP_1) | instid1(VALU_DEP_1)
	v_add_f64 v[22:23], v[78:79], v[22:23]
	v_fma_f64 v[78:79], v[211:212], s[2:3], v[217:218]
	v_add_f64 v[20:21], v[78:79], v[20:21]
	v_fma_f64 v[78:79], v[184:185], s[2:3], -v[219:220]
	s_delay_alu instid0(VALU_DEP_1) | instskip(SKIP_1) | instid1(VALU_DEP_1)
	v_add_f64 v[78:79], v[78:79], v[22:23]
	;; [unrolled: 5-line block ×3, first 2 shown]
	v_mul_f64 v[78:79], v[162:163], s[22:23]
	v_add_f64 v[78:79], v[231:232], -v[78:79]
	v_mul_f64 v[231:232], v[70:71], s[20:21]
	s_delay_alu instid0(VALU_DEP_2) | instskip(NEXT) | instid1(VALU_DEP_2)
	v_add_f64 v[76:77], v[78:79], v[76:77]
	v_add_f64 v[221:222], v[231:232], v[221:222]
	v_mul_f64 v[231:232], v[180:181], s[28:29]
	s_delay_alu instid0(VALU_DEP_2) | instskip(NEXT) | instid1(VALU_DEP_2)
	v_add_f64 v[78:79], v[221:222], v[84:85]
	v_add_f64 v[231:232], v[239:240], -v[231:232]
	v_mul_f64 v[239:240], v[174:175], s[24:25]
	v_mul_f64 v[84:85], v[207:208], s[36:37]
	s_delay_alu instid0(VALU_DEP_3) | instskip(NEXT) | instid1(VALU_DEP_3)
	v_add_f64 v[76:77], v[231:232], v[76:77]
	v_add_f64 v[225:226], v[239:240], v[225:226]
	v_mul_f64 v[239:240], v[203:204], s[30:31]
	s_delay_alu instid0(VALU_DEP_4) | instskip(SKIP_1) | instid1(VALU_DEP_4)
	v_add_f64 v[84:85], v[197:198], -v[84:85]
	v_mul_f64 v[197:198], v[190:191], s[12:13]
	v_add_f64 v[78:79], v[225:226], v[78:79]
	s_delay_alu instid0(VALU_DEP_4) | instskip(SKIP_1) | instid1(VALU_DEP_4)
	v_add_f64 v[239:240], v[245:246], -v[239:240]
	v_mul_f64 v[245:246], v[184:185], s[16:17]
	v_add_f64 v[197:198], v[197:198], v[235:236]
	v_mul_f64 v[225:226], v[203:204], s[14:15]
	s_delay_alu instid0(VALU_DEP_4) | instskip(NEXT) | instid1(VALU_DEP_4)
	v_add_f64 v[76:77], v[239:240], v[76:77]
	v_add_f64 v[233:234], v[245:246], v[233:234]
	s_delay_alu instid0(VALU_DEP_3) | instskip(SKIP_1) | instid1(VALU_DEP_3)
	v_add_f64 v[6:7], v[6:7], -v[225:226]
	v_mul_f64 v[225:226], v[184:185], s[12:13]
	v_add_f64 v[221:222], v[233:234], v[78:79]
	v_add_f64 v[78:79], v[84:85], v[76:77]
	v_mul_f64 v[84:85], v[162:163], s[28:29]
	s_delay_alu instid0(VALU_DEP_4) | instskip(NEXT) | instid1(VALU_DEP_4)
	v_add_f64 v[225:226], v[225:226], v[253:254]
	v_add_f64 v[76:77], v[197:198], v[221:222]
	v_mul_f64 v[197:198], v[70:71], s[24:25]
	s_delay_alu instid0(VALU_DEP_4) | instskip(SKIP_1) | instid1(VALU_DEP_3)
	v_add_f64 v[84:85], v[249:250], -v[84:85]
	v_mul_f64 v[221:222], v[180:181], s[34:35]
	v_add_f64 v[197:198], v[197:198], v[227:228]
	s_delay_alu instid0(VALU_DEP_3) | instskip(NEXT) | instid1(VALU_DEP_3)
	v_add_f64 v[84:85], v[84:85], v[237:238]
	v_add_f64 v[0:1], v[0:1], -v[221:222]
	v_mul_f64 v[221:222], v[174:175], s[2:3]
	s_delay_alu instid0(VALU_DEP_4) | instskip(SKIP_1) | instid1(VALU_DEP_4)
	v_add_f64 v[86:87], v[197:198], v[86:87]
	v_mul_f64 v[197:198], v[207:208], s[22:23]
	v_add_f64 v[0:1], v[0:1], v[84:85]
	s_delay_alu instid0(VALU_DEP_4) | instskip(NEXT) | instid1(VALU_DEP_3)
	v_add_f64 v[221:222], v[221:222], v[243:244]
	v_add_f64 v[8:9], v[8:9], -v[197:198]
	s_delay_alu instid0(VALU_DEP_3) | instskip(NEXT) | instid1(VALU_DEP_3)
	v_add_f64 v[0:1], v[6:7], v[0:1]
	v_add_f64 v[84:85], v[221:222], v[86:87]
	v_mul_f64 v[86:87], v[190:191], s[20:21]
	s_delay_alu instid0(VALU_DEP_3) | instskip(NEXT) | instid1(VALU_DEP_3)
	v_add_f64 v[8:9], v[8:9], v[0:1]
	v_add_f64 v[6:7], v[225:226], v[84:85]
	v_mul_f64 v[0:1], v[162:163], s[30:31]
	v_mul_f64 v[84:85], v[180:181], s[14:15]
	v_add_f64 v[86:87], v[86:87], v[247:248]
	s_delay_alu instid0(VALU_DEP_3) | instskip(SKIP_1) | instid1(VALU_DEP_4)
	v_add_f64 v[0:1], v[12:13], -v[0:1]
	v_mul_f64 v[12:13], v[70:71], s[16:17]
	v_add_f64 v[14:15], v[14:15], -v[84:85]
	v_mul_f64 v[84:85], v[174:175], s[12:13]
	v_add_f64 v[6:7], v[86:87], v[6:7]
	v_add_f64 v[0:1], v[0:1], v[156:157]
	;; [unrolled: 1-line block ×3, first 2 shown]
	s_delay_alu instid0(VALU_DEP_4) | instskip(SKIP_1) | instid1(VALU_DEP_4)
	v_add_f64 v[2:3], v[84:85], v[2:3]
	v_mul_f64 v[84:85], v[203:204], s[26:27]
	v_add_f64 v[0:1], v[14:15], v[0:1]
	s_delay_alu instid0(VALU_DEP_4) | instskip(SKIP_1) | instid1(VALU_DEP_4)
	v_add_f64 v[12:13], v[12:13], v[160:161]
	v_fma_f64 v[14:15], v[213:214], s[16:17], -v[176:177]
	v_add_f64 v[16:17], v[16:17], -v[84:85]
	v_mul_f64 v[84:85], v[184:185], s[24:25]
	s_delay_alu instid0(VALU_DEP_4) | instskip(SKIP_1) | instid1(VALU_DEP_4)
	v_add_f64 v[2:3], v[2:3], v[12:13]
	v_mul_f64 v[12:13], v[190:191], s[2:3]
	v_add_f64 v[0:1], v[16:17], v[0:1]
	s_delay_alu instid0(VALU_DEP_4)
	v_add_f64 v[10:11], v[84:85], v[10:11]
	v_mul_f64 v[84:85], v[207:208], s[34:35]
	v_fma_f64 v[16:17], v[70:71], s[12:13], v[172:173]
	v_add_f64 v[4:5], v[12:13], v[4:5]
	v_fma_f64 v[12:13], v[211:212], s[2:3], -v[217:218]
	v_add_f64 v[10:11], v[10:11], v[2:3]
	v_add_f64 v[18:19], v[18:19], -v[84:85]
	v_add_f64 v[16:17], v[16:17], v[241:242]
	v_mul_f64 v[84:85], v[207:208], s[26:27]
	s_delay_alu instid0(VALU_DEP_3) | instskip(SKIP_4) | instid1(VALU_DEP_3)
	v_add_f64 v[2:3], v[18:19], v[0:1]
	v_add_f64 v[0:1], v[4:5], v[10:11]
	v_fma_f64 v[4:5], v[178:179], s[12:13], -v[229:230]
	v_fma_f64 v[10:11], v[188:189], s[20:21], -v[192:193]
	v_mul_f64 v[18:19], v[174:175], s[16:17]
	v_add_f64 v[4:5], v[4:5], v[80:81]
	v_mul_f64 v[80:81], v[184:185], s[20:21]
	s_delay_alu instid0(VALU_DEP_3) | instskip(NEXT) | instid1(VALU_DEP_3)
	v_add_f64 v[18:19], v[18:19], v[182:183]
	v_add_f64 v[4:5], v[10:11], v[4:5]
	v_fma_f64 v[10:11], v[174:175], s[20:21], v[215:216]
	s_delay_alu instid0(VALU_DEP_4) | instskip(NEXT) | instid1(VALU_DEP_3)
	v_add_f64 v[80:81], v[80:81], v[201:202]
	v_add_f64 v[4:5], v[12:13], v[4:5]
	s_delay_alu instid0(VALU_DEP_3) | instskip(SKIP_2) | instid1(VALU_DEP_2)
	v_add_f64 v[10:11], v[10:11], v[16:17]
	v_fma_f64 v[12:13], v[184:185], s[2:3], v[219:220]
	v_fma_f64 v[16:17], v[190:191], s[16:17], v[223:224]
	v_add_f64 v[10:11], v[12:13], v[10:11]
	v_add_f64 v[12:13], v[14:15], v[4:5]
	v_mul_f64 v[4:5], v[162:163], s[10:11]
	v_mul_f64 v[14:15], v[70:71], s[2:3]
	;; [unrolled: 1-line block ×3, first 2 shown]
	v_add_f64 v[10:11], v[16:17], v[10:11]
	scratch_load_b64 v[16:17], off, off offset:200 ; 8-byte Folded Reload
	v_add_f64 v[4:5], v[82:83], -v[4:5]
	scratch_load_b64 v[82:83], off, off offset:192 ; 8-byte Folded Reload
	v_add_f64 v[70:71], v[209:210], -v[70:71]
	v_add_f64 v[4:5], v[4:5], v[166:167]
	s_waitcnt vmcnt(1)
	v_add_f64 v[14:15], v[14:15], v[16:17]
	v_mul_f64 v[16:17], v[180:181], s[18:19]
	s_waitcnt vmcnt(0)
	v_add_f64 v[84:85], v[82:83], -v[84:85]
	s_delay_alu instid0(VALU_DEP_3) | instskip(NEXT) | instid1(VALU_DEP_3)
	v_add_f64 v[14:15], v[14:15], v[164:165]
	v_add_f64 v[16:17], v[186:187], -v[16:17]
	s_delay_alu instid0(VALU_DEP_2) | instskip(NEXT) | instid1(VALU_DEP_2)
	v_add_f64 v[14:15], v[18:19], v[14:15]
	v_add_f64 v[4:5], v[16:17], v[4:5]
	v_mul_f64 v[16:17], v[190:191], s[24:25]
	s_delay_alu instid0(VALU_DEP_3) | instskip(NEXT) | instid1(VALU_DEP_3)
	v_add_f64 v[14:15], v[80:81], v[14:15]
	v_add_f64 v[4:5], v[70:71], v[4:5]
	s_delay_alu instid0(VALU_DEP_3) | instskip(NEXT) | instid1(VALU_DEP_2)
	v_add_f64 v[18:19], v[16:17], v[205:206]
	v_add_f64 v[16:17], v[84:85], v[4:5]
	s_delay_alu instid0(VALU_DEP_2)
	v_add_f64 v[14:15], v[18:19], v[14:15]
	s_clause 0x2
	scratch_load_b64 v[4:5], off, off offset:152
	scratch_load_b64 v[18:19], off, off offset:208
	scratch_load_b64 v[70:71], off, off offset:184
	s_waitcnt vmcnt(1)
	v_add_f64 v[4:5], v[4:5], v[18:19]
	scratch_load_b64 v[18:19], off, off offset:176 ; 8-byte Folded Reload
	s_waitcnt vmcnt(0)
	v_add_f64 v[18:19], v[18:19], v[194:195]
	s_delay_alu instid0(VALU_DEP_1) | instskip(NEXT) | instid1(VALU_DEP_1)
	v_add_f64 v[18:19], v[152:153], v[18:19]
	v_add_f64 v[18:19], v[158:159], v[18:19]
	s_delay_alu instid0(VALU_DEP_1) | instskip(NEXT) | instid1(VALU_DEP_1)
	v_add_f64 v[18:19], v[199:200], v[18:19]
	v_add_f64 v[18:19], v[68:69], v[18:19]
	s_delay_alu instid0(VALU_DEP_1) | instskip(SKIP_3) | instid1(VALU_DEP_2)
	v_add_f64 v[18:19], v[64:65], v[18:19]
	scratch_load_b64 v[64:65], off, off offset:160 ; 8-byte Folded Reload
	v_add_f64 v[4:5], v[70:71], v[4:5]
	v_add_f64 v[18:19], v[168:169], v[18:19]
	;; [unrolled: 1-line block ×3, first 2 shown]
	s_delay_alu instid0(VALU_DEP_1) | instskip(NEXT) | instid1(VALU_DEP_1)
	v_add_f64 v[4:5], v[66:67], v[4:5]
	v_add_f64 v[4:5], v[170:171], v[4:5]
	s_delay_alu instid0(VALU_DEP_1) | instskip(NEXT) | instid1(VALU_DEP_1)
	v_add_f64 v[4:5], v[154:155], v[4:5]
	v_add_f64 v[4:5], v[72:73], v[4:5]
	s_waitcnt vmcnt(0)
	s_delay_alu instid0(VALU_DEP_1)
	v_add_f64 v[4:5], v[64:65], v[4:5]
	scratch_load_b64 v[64:65], off, off offset:168 ; 8-byte Folded Reload
	s_waitcnt vmcnt(0)
	v_add_f64 v[18:19], v[64:65], v[18:19]
	scratch_load_b64 v[64:65], off, off offset:136 ; 8-byte Folded Reload
	s_waitcnt vmcnt(0)
	;; [unrolled: 3-line block ×3, first 2 shown]
	v_add_f64 v[64:65], v[4:5], v[18:19]
	s_clause 0x1
	scratch_load_b32 v4, off, off offset:128
	scratch_load_b32 v5, off, off offset:124
	s_waitcnt vmcnt(1)
	v_mul_u32_u24_e32 v4, 33, v4
	s_waitcnt vmcnt(0)
	s_delay_alu instid0(VALU_DEP_1)
	v_add_lshl_u32 v4, v4, v5, 4
	ds_store_b128 v4, v[76:79] offset:96
	ds_store_b128 v4, v[60:63] offset:384
	;; [unrolled: 1-line block ×9, first 2 shown]
	ds_store_b128 v4, v[64:67]
	ds_store_b128 v4, v[52:55] offset:480
.LBB0_25:
	s_or_b32 exec_lo, exec_lo, s33
	s_waitcnt lgkmcnt(0)
	s_waitcnt_vscnt null, 0x0
	s_barrier
	buffer_gl0_inv
	ds_load_b128 v[64:67], v255
	ds_load_b128 v[84:87], v255 offset:4224
	ds_load_b128 v[80:83], v255 offset:8448
	;; [unrolled: 1-line block ×6, first 2 shown]
	s_and_saveexec_b32 s0, s1
	s_cbranch_execz .LBB0_27
; %bb.26:
	ds_load_b128 v[48:51], v255 offset:3696
	ds_load_b128 v[60:63], v255 offset:7920
	;; [unrolled: 1-line block ×7, first 2 shown]
.LBB0_27:
	s_or_b32 exec_lo, exec_lo, s0
	s_waitcnt lgkmcnt(5)
	v_mul_f64 v[0:1], v[102:103], v[86:87]
	v_mul_f64 v[2:3], v[102:103], v[84:85]
	s_waitcnt lgkmcnt(4)
	v_mul_f64 v[4:5], v[98:99], v[82:83]
	v_mul_f64 v[6:7], v[98:99], v[80:81]
	;; [unrolled: 3-line block ×3, first 2 shown]
	v_mul_f64 v[12:13], v[90:91], v[78:79]
	v_mul_f64 v[14:15], v[90:91], v[76:77]
	;; [unrolled: 1-line block ×6, first 2 shown]
	s_mov_b32 s10, 0x37e14327
	s_mov_b32 s14, 0xe976ee23
	;; [unrolled: 1-line block ×20, first 2 shown]
	s_barrier
	buffer_gl0_inv
	v_fma_f64 v[0:1], v[100:101], v[84:85], v[0:1]
	v_fma_f64 v[2:3], v[100:101], v[86:87], -v[2:3]
	v_fma_f64 v[4:5], v[96:97], v[80:81], v[4:5]
	v_fma_f64 v[6:7], v[96:97], v[82:83], -v[6:7]
	;; [unrolled: 2-line block ×6, first 2 shown]
	v_add_f64 v[68:69], v[0:1], v[8:9]
	v_add_f64 v[70:71], v[2:3], v[10:11]
	;; [unrolled: 1-line block ×4, first 2 shown]
	v_add_f64 v[4:5], v[4:5], -v[12:13]
	v_add_f64 v[6:7], v[6:7], -v[14:15]
	v_add_f64 v[12:13], v[16:17], v[20:21]
	v_add_f64 v[14:15], v[18:19], v[22:23]
	v_add_f64 v[16:17], v[20:21], -v[16:17]
	v_add_f64 v[18:19], v[22:23], -v[18:19]
	;; [unrolled: 1-line block ×4, first 2 shown]
	v_add_f64 v[0:1], v[72:73], v[68:69]
	v_add_f64 v[2:3], v[74:75], v[70:71]
	v_add_f64 v[20:21], v[68:69], -v[12:13]
	v_add_f64 v[22:23], v[70:71], -v[14:15]
	;; [unrolled: 1-line block ×6, first 2 shown]
	v_add_f64 v[4:5], v[16:17], v[4:5]
	v_add_f64 v[6:7], v[18:19], v[6:7]
	v_add_f64 v[16:17], v[8:9], -v[16:17]
	v_add_f64 v[18:19], v[10:11], -v[18:19]
	v_add_f64 v[84:85], v[12:13], v[0:1]
	v_add_f64 v[86:87], v[14:15], v[2:3]
	v_add_f64 v[12:13], v[12:13], -v[72:73]
	v_add_f64 v[14:15], v[14:15], -v[74:75]
	v_mul_f64 v[20:21], v[20:21], s[10:11]
	v_mul_f64 v[22:23], v[22:23], s[10:11]
	;; [unrolled: 1-line block ×6, first 2 shown]
	v_add_f64 v[4:5], v[4:5], v[8:9]
	v_add_f64 v[6:7], v[6:7], v[10:11]
	;; [unrolled: 1-line block ×4, first 2 shown]
	v_add_f64 v[64:65], v[72:73], -v[68:69]
	v_add_f64 v[66:67], v[74:75], -v[70:71]
	v_mul_f64 v[68:69], v[12:13], s[18:19]
	v_mul_f64 v[70:71], v[14:15], s[18:19]
	v_fma_f64 v[8:9], v[12:13], s[18:19], v[20:21]
	v_fma_f64 v[10:11], v[14:15], s[18:19], v[22:23]
	;; [unrolled: 1-line block ×4, first 2 shown]
	v_fma_f64 v[72:73], v[80:81], s[2:3], -v[76:77]
	v_fma_f64 v[74:75], v[82:83], s[2:3], -v[78:79]
	;; [unrolled: 1-line block ×4, first 2 shown]
	v_fma_f64 v[76:77], v[84:85], s[12:13], v[0:1]
	v_fma_f64 v[78:79], v[86:87], s[12:13], v[2:3]
	v_fma_f64 v[20:21], v[64:65], s[20:21], -v[20:21]
	v_fma_f64 v[22:23], v[66:67], s[20:21], -v[22:23]
	;; [unrolled: 1-line block ×4, first 2 shown]
	v_fma_f64 v[68:69], v[4:5], s[26:27], v[12:13]
	v_fma_f64 v[70:71], v[6:7], s[26:27], v[14:15]
	v_fma_f64 v[72:73], v[4:5], s[26:27], v[72:73]
	v_fma_f64 v[74:75], v[6:7], s[26:27], v[74:75]
	v_fma_f64 v[80:81], v[4:5], s[26:27], v[16:17]
	v_fma_f64 v[82:83], v[6:7], s[26:27], v[18:19]
	v_add_f64 v[84:85], v[8:9], v[76:77]
	v_add_f64 v[86:87], v[10:11], v[78:79]
	;; [unrolled: 1-line block ×7, first 2 shown]
	v_add_f64 v[6:7], v[86:87], -v[68:69]
	v_add_f64 v[8:9], v[82:83], v[20:21]
	v_add_f64 v[10:11], v[22:23], -v[80:81]
	v_add_f64 v[12:13], v[16:17], -v[74:75]
	v_add_f64 v[14:15], v[72:73], v[18:19]
	v_add_f64 v[16:17], v[74:75], v[16:17]
	v_add_f64 v[18:19], v[18:19], -v[72:73]
	v_add_f64 v[20:21], v[20:21], -v[82:83]
	v_add_f64 v[22:23], v[80:81], v[22:23]
	v_add_f64 v[64:65], v[84:85], -v[70:71]
	v_add_f64 v[66:67], v[68:69], v[86:87]
	ds_store_b128 v196, v[0:3]
	ds_store_b128 v196, v[4:7] offset:528
	ds_store_b128 v196, v[8:11] offset:1056
	;; [unrolled: 1-line block ×6, first 2 shown]
	s_and_saveexec_b32 s0, s1
	s_cbranch_execz .LBB0_29
; %bb.28:
	v_mul_f64 v[0:1], v[34:35], v[148:149]
	v_mul_f64 v[2:3], v[30:31], v[60:61]
	;; [unrolled: 1-line block ×12, first 2 shown]
	v_fma_f64 v[0:1], v[32:33], v[150:151], -v[0:1]
	v_fma_f64 v[2:3], v[28:29], v[62:63], -v[2:3]
	;; [unrolled: 1-line block ×4, first 2 shown]
	v_fma_f64 v[8:9], v[28:29], v[60:61], v[8:9]
	v_fma_f64 v[10:11], v[32:33], v[148:149], v[10:11]
	;; [unrolled: 1-line block ×6, first 2 shown]
	v_fma_f64 v[20:21], v[40:41], v[54:55], -v[20:21]
	v_fma_f64 v[22:23], v[36:37], v[142:143], -v[22:23]
	v_add_f64 v[24:25], v[2:3], v[0:1]
	v_add_f64 v[26:27], v[6:7], v[4:5]
	v_add_f64 v[4:5], v[6:7], -v[4:5]
	v_add_f64 v[28:29], v[8:9], v[10:11]
	v_add_f64 v[8:9], v[8:9], -v[10:11]
	;; [unrolled: 2-line block ×3, first 2 shown]
	v_add_f64 v[32:33], v[16:17], -v[18:19]
	v_add_f64 v[16:17], v[18:19], v[16:17]
	v_add_f64 v[14:15], v[20:21], v[22:23]
	v_add_f64 v[18:19], v[22:23], -v[20:21]
	v_add_f64 v[6:7], v[2:3], -v[0:1]
	v_add_f64 v[10:11], v[26:27], v[24:25]
	v_add_f64 v[0:1], v[30:31], v[28:29]
	v_add_f64 v[34:35], v[12:13], -v[8:9]
	v_add_f64 v[2:3], v[32:33], -v[12:13]
	;; [unrolled: 1-line block ×7, first 2 shown]
	v_add_f64 v[12:13], v[32:33], v[12:13]
	v_add_f64 v[4:5], v[18:19], v[4:5]
	v_add_f64 v[18:19], v[6:7], -v[18:19]
	v_add_f64 v[24:25], v[26:27], -v[24:25]
	;; [unrolled: 1-line block ×3, first 2 shown]
	v_add_f64 v[10:11], v[14:15], v[10:11]
	v_add_f64 v[14:15], v[14:15], -v[26:27]
	v_add_f64 v[40:41], v[16:17], v[0:1]
	v_add_f64 v[16:17], v[16:17], -v[30:31]
	v_mul_f64 v[32:33], v[2:3], s[14:15]
	v_mul_f64 v[22:23], v[22:23], s[10:11]
	;; [unrolled: 1-line block ×6, first 2 shown]
	v_add_f64 v[8:9], v[12:13], v[8:9]
	v_add_f64 v[4:5], v[4:5], v[6:7]
	;; [unrolled: 1-line block ×3, first 2 shown]
	v_mul_f64 v[26:27], v[14:15], s[18:19]
	v_add_f64 v[0:1], v[48:49], v[40:41]
	v_mul_f64 v[30:31], v[16:17], s[18:19]
	v_fma_f64 v[6:7], v[42:43], s[22:23], v[32:33]
	v_fma_f64 v[32:33], v[34:35], s[2:3], -v[32:33]
	v_fma_f64 v[12:13], v[14:15], s[18:19], v[20:21]
	v_fma_f64 v[14:15], v[16:17], s[18:19], v[22:23]
	v_fma_f64 v[16:17], v[42:43], s[24:25], -v[44:45]
	v_fma_f64 v[20:21], v[24:25], s[20:21], -v[20:21]
	;; [unrolled: 1-line block ×4, first 2 shown]
	v_fma_f64 v[10:11], v[10:11], s[12:13], v[2:3]
	v_fma_f64 v[24:25], v[24:25], s[16:17], -v[26:27]
	v_fma_f64 v[26:27], v[18:19], s[22:23], v[36:37]
	v_fma_f64 v[18:19], v[18:19], s[24:25], -v[46:47]
	;; [unrolled: 2-line block ×3, first 2 shown]
	v_fma_f64 v[30:31], v[8:9], s[26:27], v[6:7]
	v_fma_f64 v[16:17], v[8:9], s[26:27], v[16:17]
	;; [unrolled: 1-line block ×3, first 2 shown]
	v_add_f64 v[12:13], v[12:13], v[10:11]
	v_add_f64 v[20:21], v[20:21], v[10:11]
	v_fma_f64 v[32:33], v[4:5], s[26:27], v[26:27]
	v_fma_f64 v[38:39], v[4:5], s[26:27], v[18:19]
	;; [unrolled: 1-line block ×3, first 2 shown]
	v_add_f64 v[28:29], v[28:29], v[36:37]
	v_add_f64 v[24:25], v[24:25], v[10:11]
	;; [unrolled: 1-line block ×6, first 2 shown]
	v_add_f64 v[22:23], v[20:21], -v[16:17]
	v_add_f64 v[26:27], v[12:13], -v[30:31]
	;; [unrolled: 1-line block ×3, first 2 shown]
	v_add_f64 v[12:13], v[4:5], v[28:29]
	scratch_load_b32 v28, off, off offset:132 ; 4-byte Folded Reload
	v_add_f64 v[14:15], v[24:25], -v[8:9]
	v_add_f64 v[18:19], v[8:9], v[24:25]
	v_add_f64 v[24:25], v[32:33], v[34:35]
	;; [unrolled: 1-line block ×3, first 2 shown]
	v_add_f64 v[8:9], v[40:41], -v[38:39]
	v_add_f64 v[4:5], v[34:35], -v[32:33]
	s_waitcnt vmcnt(0)
	v_lshlrev_b32_e32 v28, 4, v28
	ds_store_b128 v28, v[0:3] offset:25872
	ds_store_b128 v28, v[24:27] offset:26400
	;; [unrolled: 1-line block ×7, first 2 shown]
.LBB0_29:
	s_or_b32 exec_lo, exec_lo, s0
	s_waitcnt lgkmcnt(0)
	s_barrier
	buffer_gl0_inv
	ds_load_b128 v[0:3], v255 offset:7392
	ds_load_b128 v[4:7], v255 offset:14784
	;; [unrolled: 1-line block ×6, first 2 shown]
	s_mov_b32 s2, 0x4046ed29
	s_mov_b32 s3, 0x3f41bb4a
	s_mul_i32 s0, s5, 0x268
	s_mul_hi_u32 s1, s4, 0x268
	s_mul_i32 s11, s5, 0xfffffc17
	s_mul_i32 s10, s4, 0xfffffc17
	s_waitcnt lgkmcnt(5)
	v_mul_f64 v[24:25], v[122:123], v[2:3]
	v_mul_f64 v[26:27], v[122:123], v[0:1]
	s_waitcnt lgkmcnt(4)
	v_mul_f64 v[28:29], v[118:119], v[6:7]
	v_mul_f64 v[30:31], v[118:119], v[4:5]
	;; [unrolled: 3-line block ×6, first 2 shown]
	v_fma_f64 v[24:25], v[120:121], v[0:1], v[24:25]
	v_fma_f64 v[26:27], v[120:121], v[2:3], -v[26:27]
	v_fma_f64 v[28:29], v[116:117], v[4:5], v[28:29]
	v_fma_f64 v[30:31], v[116:117], v[6:7], -v[30:31]
	;; [unrolled: 2-line block ×6, first 2 shown]
	ds_load_b128 v[0:3], v255
	ds_load_b128 v[4:7], v255 offset:3696
	s_waitcnt lgkmcnt(0)
	s_barrier
	buffer_gl0_inv
	v_add_f64 v[28:29], v[0:1], -v[28:29]
	v_add_f64 v[30:31], v[2:3], -v[30:31]
	;; [unrolled: 1-line block ×8, first 2 shown]
	v_fma_f64 v[22:23], v[0:1], 2.0, -v[28:29]
	v_fma_f64 v[36:37], v[2:3], 2.0, -v[30:31]
	;; [unrolled: 1-line block ×4, first 2 shown]
	v_add_f64 v[0:1], v[28:29], v[10:11]
	v_add_f64 v[2:3], v[30:31], -v[8:9]
	v_fma_f64 v[38:39], v[4:5], 2.0, -v[32:33]
	v_fma_f64 v[40:41], v[6:7], 2.0, -v[34:35]
	;; [unrolled: 1-line block ×4, first 2 shown]
	v_add_f64 v[4:5], v[32:33], v[18:19]
	v_add_f64 v[8:9], v[22:23], -v[20:21]
	v_add_f64 v[10:11], v[36:37], -v[24:25]
	v_fma_f64 v[18:19], v[30:31], 2.0, -v[2:3]
	v_add_f64 v[12:13], v[38:39], -v[6:7]
	v_add_f64 v[14:15], v[40:41], -v[14:15]
	;; [unrolled: 1-line block ×3, first 2 shown]
	v_fma_f64 v[16:17], v[28:29], 2.0, -v[0:1]
	v_fma_f64 v[20:21], v[32:33], 2.0, -v[4:5]
	;; [unrolled: 1-line block ×7, first 2 shown]
	ds_store_b128 v255, v[8:11] offset:7392
	ds_store_b128 v255, v[0:3] offset:11088
	;; [unrolled: 1-line block ×4, first 2 shown]
	ds_store_b128 v255, v[24:27]
	ds_store_b128 v255, v[16:19] offset:3696
	ds_store_b128 v255, v[28:31] offset:14784
	;; [unrolled: 1-line block ×3, first 2 shown]
	s_waitcnt lgkmcnt(0)
	s_barrier
	buffer_gl0_inv
	ds_load_b128 v[0:3], v255 offset:14784
	ds_load_b128 v[4:7], v255 offset:18480
	;; [unrolled: 1-line block ×4, first 2 shown]
	s_waitcnt lgkmcnt(3)
	v_mul_f64 v[16:17], v[126:127], v[2:3]
	v_mul_f64 v[18:19], v[126:127], v[0:1]
	s_waitcnt lgkmcnt(2)
	v_mul_f64 v[20:21], v[134:135], v[6:7]
	v_mul_f64 v[22:23], v[134:135], v[4:5]
	;; [unrolled: 3-line block ×4, first 2 shown]
	v_fma_f64 v[16:17], v[124:125], v[0:1], v[16:17]
	v_fma_f64 v[18:19], v[124:125], v[2:3], -v[18:19]
	v_fma_f64 v[20:21], v[132:133], v[4:5], v[20:21]
	v_fma_f64 v[22:23], v[132:133], v[6:7], -v[22:23]
	;; [unrolled: 2-line block ×4, first 2 shown]
	ds_load_b128 v[0:3], v255
	ds_load_b128 v[4:7], v255 offset:3696
	ds_load_b128 v[8:11], v255 offset:7392
	;; [unrolled: 1-line block ×3, first 2 shown]
	s_waitcnt lgkmcnt(3)
	v_add_f64 v[16:17], v[0:1], -v[16:17]
	v_add_f64 v[18:19], v[2:3], -v[18:19]
	s_waitcnt lgkmcnt(2)
	v_add_f64 v[20:21], v[4:5], -v[20:21]
	v_add_f64 v[22:23], v[6:7], -v[22:23]
	;; [unrolled: 3-line block ×4, first 2 shown]
	v_fma_f64 v[0:1], v[0:1], 2.0, -v[16:17]
	v_fma_f64 v[2:3], v[2:3], 2.0, -v[18:19]
	;; [unrolled: 1-line block ×8, first 2 shown]
	ds_store_b128 v255, v[16:19] offset:14784
	ds_store_b128 v255, v[20:23] offset:18480
	;; [unrolled: 1-line block ×4, first 2 shown]
	ds_store_b128 v255, v[0:3]
	ds_store_b128 v255, v[4:7] offset:3696
	ds_store_b128 v255, v[8:11] offset:7392
	ds_store_b128 v255, v[12:15] offset:11088
	s_waitcnt lgkmcnt(0)
	s_barrier
	buffer_gl0_inv
	ds_load_b128 v[0:3], v255
	ds_load_b128 v[4:7], v255 offset:9856
	ds_load_b128 v[8:11], v255 offset:19712
	;; [unrolled: 1-line block ×5, first 2 shown]
	s_clause 0x3
	scratch_load_b128 v[51:54], off, off offset:28
	scratch_load_b128 v[57:60], off, off offset:60
	;; [unrolled: 1-line block ×3, first 2 shown]
	scratch_load_b64 v[48:49], off, off offset:12
	s_waitcnt vmcnt(3) lgkmcnt(5)
	v_mul_f64 v[24:25], v[53:54], v[2:3]
	v_mul_f64 v[26:27], v[53:54], v[0:1]
	scratch_load_b128 v[53:56], off, off offset:44 ; 16-byte Folded Reload
	s_waitcnt vmcnt(2) lgkmcnt(4)
	v_mul_f64 v[28:29], v[63:64], v[6:7]
	v_mul_f64 v[30:31], v[63:64], v[4:5]
	scratch_load_b128 v[63:66], off, off offset:92 ; 16-byte Folded Reload
	s_waitcnt lgkmcnt(3)
	v_mul_f64 v[32:33], v[59:60], v[10:11]
	v_mul_f64 v[34:35], v[59:60], v[8:9]
	v_fma_f64 v[0:1], v[51:52], v[0:1], v[24:25]
	v_fma_f64 v[24:25], v[51:52], v[2:3], -v[26:27]
	v_fma_f64 v[26:27], v[61:62], v[4:5], v[28:29]
	v_fma_f64 v[28:29], v[61:62], v[6:7], -v[30:31]
	v_fma_f64 v[30:31], v[57:58], v[8:9], v[32:33]
	scratch_load_b32 v8, off, off           ; 4-byte Folded Reload
	s_waitcnt vmcnt(3)
	v_mov_b32_e32 v50, v48
	v_fma_f64 v[32:33], v[57:58], v[10:11], -v[34:35]
	s_delay_alu instid0(VALU_DEP_2) | instskip(SKIP_1) | instid1(VALU_DEP_1)
	v_mad_u64_u32 v[48:49], null, s6, v50, 0
	s_mul_i32 s6, s4, 0x268
	v_mov_b32_e32 v4, v49
	s_delay_alu instid0(VALU_DEP_1) | instskip(SKIP_1) | instid1(VALU_DEP_1)
	v_mad_u64_u32 v[5:6], null, s7, v50, v[4:5]
	s_add_i32 s7, s1, s0
	v_mov_b32_e32 v49, v5
	v_mul_f64 v[10:11], v[30:31], s[2:3]
	s_waitcnt vmcnt(2) lgkmcnt(2)
	v_mul_f64 v[36:37], v[55:56], v[14:15]
	v_mul_f64 v[38:39], v[55:56], v[12:13]
	s_waitcnt vmcnt(1) lgkmcnt(1)
	v_mul_f64 v[40:41], v[65:66], v[18:19]
	v_mul_f64 v[42:43], v[65:66], v[16:17]
	scratch_load_b128 v[65:68], off, off offset:108 ; 16-byte Folded Reload
	v_fma_f64 v[34:35], v[53:54], v[12:13], v[36:37]
	v_fma_f64 v[36:37], v[53:54], v[14:15], -v[38:39]
	v_mul_f64 v[12:13], v[32:33], s[2:3]
	v_fma_f64 v[38:39], v[63:64], v[16:17], v[40:41]
	v_fma_f64 v[40:41], v[63:64], v[18:19], -v[42:43]
	s_waitcnt vmcnt(1)
	v_mad_u64_u32 v[2:3], null, s4, v8, 0
	s_delay_alu instid0(VALU_DEP_1) | instskip(SKIP_3) | instid1(SALU_CYCLE_1)
	v_mad_u64_u32 v[6:7], null, s5, v8, v[3:4]
	v_mul_f64 v[4:5], v[24:25], s[2:3]
	v_mul_f64 v[8:9], v[28:29], s[2:3]
	s_mul_hi_u32 s5, s4, 0xfffffc17
	s_sub_i32 s1, s5, s4
	s_lshl_b64 s[4:5], s[6:7], 4
	s_delay_alu instid0(VALU_DEP_3) | instskip(SKIP_2) | instid1(SALU_CYCLE_1)
	v_mov_b32_e32 v3, v6
	v_mul_f64 v[6:7], v[26:27], s[2:3]
	s_add_i32 s11, s1, s11
	s_lshl_b64 s[6:7], s[10:11], 4
	v_mul_f64 v[14:15], v[34:35], s[2:3]
	v_mul_f64 v[16:17], v[36:37], s[2:3]
	;; [unrolled: 1-line block ×3, first 2 shown]
	s_waitcnt vmcnt(0) lgkmcnt(0)
	v_mul_f64 v[44:45], v[67:68], v[22:23]
	v_mul_f64 v[46:47], v[67:68], v[20:21]
	s_delay_alu instid0(VALU_DEP_2) | instskip(NEXT) | instid1(VALU_DEP_2)
	v_fma_f64 v[42:43], v[65:66], v[20:21], v[44:45]
	v_fma_f64 v[44:45], v[65:66], v[22:23], -v[46:47]
	v_lshlrev_b64 v[46:47], 4, v[48:49]
	v_lshlrev_b64 v[48:49], 4, v[2:3]
	v_mul_f64 v[2:3], v[0:1], s[2:3]
	v_mul_f64 v[20:21], v[40:41], s[2:3]
	s_delay_alu instid0(VALU_DEP_4) | instskip(NEXT) | instid1(VALU_DEP_1)
	v_add_co_u32 v0, s0, s8, v46
	v_add_co_ci_u32_e64 v1, s0, s9, v47, s0
	s_delay_alu instid0(VALU_DEP_2) | instskip(NEXT) | instid1(VALU_DEP_1)
	v_add_co_u32 v26, s0, v0, v48
	v_add_co_ci_u32_e64 v27, s0, v1, v49, s0
	s_delay_alu instid0(VALU_DEP_2) | instskip(NEXT) | instid1(VALU_DEP_1)
	v_add_co_u32 v28, s0, v26, s4
	v_add_co_ci_u32_e64 v29, s0, s5, v27, s0
	s_delay_alu instid0(VALU_DEP_2) | instskip(NEXT) | instid1(VALU_DEP_1)
	v_add_co_u32 v30, s0, v28, s4
	v_add_co_ci_u32_e64 v31, s0, s5, v29, s0
	s_delay_alu instid0(VALU_DEP_2) | instskip(NEXT) | instid1(VALU_DEP_1)
	v_add_co_u32 v32, s0, v30, s6
	v_add_co_ci_u32_e64 v33, s0, s7, v31, s0
	s_delay_alu instid0(VALU_DEP_2) | instskip(NEXT) | instid1(VALU_DEP_1)
	v_add_co_u32 v34, s0, v32, s4
	v_add_co_ci_u32_e64 v35, s0, s5, v33, s0
	v_mul_f64 v[22:23], v[42:43], s[2:3]
	v_mul_f64 v[24:25], v[44:45], s[2:3]
	s_delay_alu instid0(VALU_DEP_4) | instskip(NEXT) | instid1(VALU_DEP_1)
	v_add_co_u32 v0, s0, v34, s4
	v_add_co_ci_u32_e64 v1, s0, s5, v35, s0
	s_clause 0x4
	global_store_b128 v[26:27], v[2:5], off
	global_store_b128 v[28:29], v[6:9], off
	;; [unrolled: 1-line block ×6, first 2 shown]
	s_and_b32 exec_lo, exec_lo, vcc_lo
	s_cbranch_execz .LBB0_31
; %bb.30:
	s_clause 0x1
	scratch_load_b32 v4, off, off offset:4
	scratch_load_b32 v5, off, off offset:8
	s_waitcnt vmcnt(1)
	v_add_co_u32 v2, vcc_lo, 0x1000, v4
	s_waitcnt vmcnt(0)
	v_add_co_ci_u32_e32 v3, vcc_lo, 0, v5, vcc_lo
	v_add_co_u32 v10, vcc_lo, 0x6000, v4
	v_add_co_ci_u32_e32 v11, vcc_lo, 0, v5, vcc_lo
	global_load_b128 v[2:5], v[2:3], off offset:3296
	scratch_load_b64 v[6:7], off, off offset:20 ; 8-byte Folded Reload
	v_add_co_u32 v0, vcc_lo, v0, s6
	v_add_co_ci_u32_e32 v1, vcc_lo, s7, v1, vcc_lo
	s_waitcnt vmcnt(0)
	s_clause 0x1
	global_load_b128 v[6:9], v[6:7], off offset:864
	global_load_b128 v[10:13], v[10:11], off offset:2528
	ds_load_b128 v[14:17], v255 offset:7392
	ds_load_b128 v[18:21], v255 offset:17248
	;; [unrolled: 1-line block ×3, first 2 shown]
	s_waitcnt lgkmcnt(2)
	v_mul_f64 v[26:27], v[16:17], v[4:5]
	v_mul_f64 v[4:5], v[14:15], v[4:5]
	s_delay_alu instid0(VALU_DEP_2) | instskip(NEXT) | instid1(VALU_DEP_2)
	v_fma_f64 v[14:15], v[14:15], v[2:3], v[26:27]
	v_fma_f64 v[4:5], v[2:3], v[16:17], -v[4:5]
	s_delay_alu instid0(VALU_DEP_2) | instskip(NEXT) | instid1(VALU_DEP_2)
	v_mul_f64 v[2:3], v[14:15], s[2:3]
	v_mul_f64 v[4:5], v[4:5], s[2:3]
	v_add_co_u32 v14, vcc_lo, v0, s4
	v_add_co_ci_u32_e32 v15, vcc_lo, s5, v1, vcc_lo
	s_waitcnt vmcnt(1) lgkmcnt(1)
	v_mul_f64 v[28:29], v[20:21], v[8:9]
	v_mul_f64 v[8:9], v[18:19], v[8:9]
	s_waitcnt vmcnt(0) lgkmcnt(0)
	v_mul_f64 v[30:31], v[24:25], v[12:13]
	v_mul_f64 v[12:13], v[22:23], v[12:13]
	s_delay_alu instid0(VALU_DEP_4) | instskip(NEXT) | instid1(VALU_DEP_4)
	v_fma_f64 v[16:17], v[18:19], v[6:7], v[28:29]
	v_fma_f64 v[8:9], v[6:7], v[20:21], -v[8:9]
	s_delay_alu instid0(VALU_DEP_4) | instskip(NEXT) | instid1(VALU_DEP_4)
	v_fma_f64 v[18:19], v[22:23], v[10:11], v[30:31]
	v_fma_f64 v[12:13], v[10:11], v[24:25], -v[12:13]
	s_delay_alu instid0(VALU_DEP_4) | instskip(NEXT) | instid1(VALU_DEP_4)
	v_mul_f64 v[6:7], v[16:17], s[2:3]
	v_mul_f64 v[8:9], v[8:9], s[2:3]
	s_delay_alu instid0(VALU_DEP_4) | instskip(NEXT) | instid1(VALU_DEP_4)
	v_mul_f64 v[10:11], v[18:19], s[2:3]
	v_mul_f64 v[12:13], v[12:13], s[2:3]
	v_add_co_u32 v16, vcc_lo, v14, s4
	v_add_co_ci_u32_e32 v17, vcc_lo, s5, v15, vcc_lo
	global_store_b128 v[0:1], v[2:5], off
	global_store_b128 v[14:15], v[6:9], off
	;; [unrolled: 1-line block ×3, first 2 shown]
.LBB0_31:
	s_nop 0
	s_sendmsg sendmsg(MSG_DEALLOC_VGPRS)
	s_endpgm
	.section	.rodata,"a",@progbits
	.p2align	6, 0x0
	.amdhsa_kernel bluestein_single_fwd_len1848_dim1_dp_op_CI_CI
		.amdhsa_group_segment_fixed_size 29568
		.amdhsa_private_segment_fixed_size 220
		.amdhsa_kernarg_size 104
		.amdhsa_user_sgpr_count 15
		.amdhsa_user_sgpr_dispatch_ptr 0
		.amdhsa_user_sgpr_queue_ptr 0
		.amdhsa_user_sgpr_kernarg_segment_ptr 1
		.amdhsa_user_sgpr_dispatch_id 0
		.amdhsa_user_sgpr_private_segment_size 0
		.amdhsa_wavefront_size32 1
		.amdhsa_uses_dynamic_stack 0
		.amdhsa_enable_private_segment 1
		.amdhsa_system_sgpr_workgroup_id_x 1
		.amdhsa_system_sgpr_workgroup_id_y 0
		.amdhsa_system_sgpr_workgroup_id_z 0
		.amdhsa_system_sgpr_workgroup_info 0
		.amdhsa_system_vgpr_workitem_id 0
		.amdhsa_next_free_vgpr 256
		.amdhsa_next_free_sgpr 40
		.amdhsa_reserve_vcc 1
		.amdhsa_float_round_mode_32 0
		.amdhsa_float_round_mode_16_64 0
		.amdhsa_float_denorm_mode_32 3
		.amdhsa_float_denorm_mode_16_64 3
		.amdhsa_dx10_clamp 1
		.amdhsa_ieee_mode 1
		.amdhsa_fp16_overflow 0
		.amdhsa_workgroup_processor_mode 1
		.amdhsa_memory_ordered 1
		.amdhsa_forward_progress 0
		.amdhsa_shared_vgpr_count 0
		.amdhsa_exception_fp_ieee_invalid_op 0
		.amdhsa_exception_fp_denorm_src 0
		.amdhsa_exception_fp_ieee_div_zero 0
		.amdhsa_exception_fp_ieee_overflow 0
		.amdhsa_exception_fp_ieee_underflow 0
		.amdhsa_exception_fp_ieee_inexact 0
		.amdhsa_exception_int_div_zero 0
	.end_amdhsa_kernel
	.text
.Lfunc_end0:
	.size	bluestein_single_fwd_len1848_dim1_dp_op_CI_CI, .Lfunc_end0-bluestein_single_fwd_len1848_dim1_dp_op_CI_CI
                                        ; -- End function
	.section	.AMDGPU.csdata,"",@progbits
; Kernel info:
; codeLenInByte = 19440
; NumSgprs: 42
; NumVgprs: 256
; ScratchSize: 220
; MemoryBound: 0
; FloatMode: 240
; IeeeMode: 1
; LDSByteSize: 29568 bytes/workgroup (compile time only)
; SGPRBlocks: 5
; VGPRBlocks: 31
; NumSGPRsForWavesPerEU: 42
; NumVGPRsForWavesPerEU: 256
; Occupancy: 5
; WaveLimiterHint : 1
; COMPUTE_PGM_RSRC2:SCRATCH_EN: 1
; COMPUTE_PGM_RSRC2:USER_SGPR: 15
; COMPUTE_PGM_RSRC2:TRAP_HANDLER: 0
; COMPUTE_PGM_RSRC2:TGID_X_EN: 1
; COMPUTE_PGM_RSRC2:TGID_Y_EN: 0
; COMPUTE_PGM_RSRC2:TGID_Z_EN: 0
; COMPUTE_PGM_RSRC2:TIDIG_COMP_CNT: 0
	.text
	.p2alignl 7, 3214868480
	.fill 96, 4, 3214868480
	.type	__hip_cuid_d709bb1aefdb3a3d,@object ; @__hip_cuid_d709bb1aefdb3a3d
	.section	.bss,"aw",@nobits
	.globl	__hip_cuid_d709bb1aefdb3a3d
__hip_cuid_d709bb1aefdb3a3d:
	.byte	0                               ; 0x0
	.size	__hip_cuid_d709bb1aefdb3a3d, 1

	.ident	"AMD clang version 19.0.0git (https://github.com/RadeonOpenCompute/llvm-project roc-6.4.0 25133 c7fe45cf4b819c5991fe208aaa96edf142730f1d)"
	.section	".note.GNU-stack","",@progbits
	.addrsig
	.addrsig_sym __hip_cuid_d709bb1aefdb3a3d
	.amdgpu_metadata
---
amdhsa.kernels:
  - .args:
      - .actual_access:  read_only
        .address_space:  global
        .offset:         0
        .size:           8
        .value_kind:     global_buffer
      - .actual_access:  read_only
        .address_space:  global
        .offset:         8
        .size:           8
        .value_kind:     global_buffer
      - .actual_access:  read_only
        .address_space:  global
        .offset:         16
        .size:           8
        .value_kind:     global_buffer
      - .actual_access:  read_only
        .address_space:  global
        .offset:         24
        .size:           8
        .value_kind:     global_buffer
      - .actual_access:  read_only
        .address_space:  global
        .offset:         32
        .size:           8
        .value_kind:     global_buffer
      - .offset:         40
        .size:           8
        .value_kind:     by_value
      - .address_space:  global
        .offset:         48
        .size:           8
        .value_kind:     global_buffer
      - .address_space:  global
        .offset:         56
        .size:           8
        .value_kind:     global_buffer
      - .address_space:  global
        .offset:         64
        .size:           8
        .value_kind:     global_buffer
      - .address_space:  global
        .offset:         72
        .size:           8
        .value_kind:     global_buffer
      - .offset:         80
        .size:           4
        .value_kind:     by_value
      - .address_space:  global
        .offset:         88
        .size:           8
        .value_kind:     global_buffer
      - .address_space:  global
        .offset:         96
        .size:           8
        .value_kind:     global_buffer
    .group_segment_fixed_size: 29568
    .kernarg_segment_align: 8
    .kernarg_segment_size: 104
    .language:       OpenCL C
    .language_version:
      - 2
      - 0
    .max_flat_workgroup_size: 231
    .name:           bluestein_single_fwd_len1848_dim1_dp_op_CI_CI
    .private_segment_fixed_size: 220
    .sgpr_count:     42
    .sgpr_spill_count: 0
    .symbol:         bluestein_single_fwd_len1848_dim1_dp_op_CI_CI.kd
    .uniform_work_group_size: 1
    .uses_dynamic_stack: false
    .vgpr_count:     256
    .vgpr_spill_count: 54
    .wavefront_size: 32
    .workgroup_processor_mode: 1
amdhsa.target:   amdgcn-amd-amdhsa--gfx1100
amdhsa.version:
  - 1
  - 2
...

	.end_amdgpu_metadata
